;; amdgpu-corpus repo=ROCm/rocSOLVER kind=compiled arch=gfx1100 opt=O3
	.text
	.amdgcn_target "amdgcn-amd-amdhsa--gfx1100"
	.amdhsa_code_object_version 6
	.p2align	2                               ; -- Begin function __ockl_fprintf_append_string_n
	.type	__ockl_fprintf_append_string_n,@function
__ockl_fprintf_append_string_n:         ; @__ockl_fprintf_append_string_n
; %bb.0:
	s_waitcnt vmcnt(0) expcnt(0) lgkmcnt(0)
	v_dual_mov_b32 v8, v3 :: v_dual_mov_b32 v7, v2
	v_or_b32_e32 v2, 2, v0
	v_cmp_eq_u32_e32 vcc_lo, 0, v6
	v_mbcnt_lo_u32_b32 v33, -1, 0
	s_mov_b32 s11, 0
	s_mov_b32 s0, exec_lo
	v_cndmask_b32_e32 v0, v2, v0, vcc_lo
	v_cmpx_ne_u64_e32 0, v[7:8]
	s_xor_b32 s10, exec_lo, s0
	s_cbranch_execz .LBB0_86
; %bb.1:
	s_load_b64 s[2:3], s[8:9], 0x50
	v_dual_mov_b32 v11, 2 :: v_dual_and_b32 v6, 2, v0
	v_mov_b32_e32 v10, 0
	v_and_b32_e32 v0, -3, v0
	v_mov_b32_e32 v12, 1
	s_mov_b32 s12, 0
	s_branch .LBB0_3
.LBB0_2:                                ;   in Loop: Header=BB0_3 Depth=1
	s_or_b32 exec_lo, exec_lo, s1
	v_sub_co_u32 v4, vcc_lo, v4, v29
	v_sub_co_ci_u32_e32 v5, vcc_lo, v5, v30, vcc_lo
	v_add_co_u32 v7, s0, v7, v29
	s_delay_alu instid0(VALU_DEP_1) | instskip(NEXT) | instid1(VALU_DEP_3)
	v_add_co_ci_u32_e64 v8, s0, v8, v30, s0
	v_cmp_eq_u64_e32 vcc_lo, 0, v[4:5]
	s_or_b32 s12, vcc_lo, s12
	s_delay_alu instid0(SALU_CYCLE_1)
	s_and_not1_b32 exec_lo, exec_lo, s12
	s_cbranch_execz .LBB0_85
.LBB0_3:                                ; =>This Loop Header: Depth=1
                                        ;     Child Loop BB0_6 Depth 2
                                        ;     Child Loop BB0_14 Depth 2
	;; [unrolled: 1-line block ×11, first 2 shown]
	v_cmp_gt_u64_e32 vcc_lo, 56, v[4:5]
	s_mov_b32 s1, exec_lo
                                        ; implicit-def: $vgpr2_vgpr3
                                        ; implicit-def: $sgpr4
	v_dual_cndmask_b32 v30, 0, v5 :: v_dual_cndmask_b32 v29, 56, v4
	v_cmpx_gt_u64_e32 8, v[4:5]
	s_xor_b32 s1, exec_lo, s1
	s_cbranch_execz .LBB0_9
; %bb.4:                                ;   in Loop: Header=BB0_3 Depth=1
	s_waitcnt vmcnt(0)
	v_mov_b32_e32 v2, 0
	v_mov_b32_e32 v3, 0
	s_mov_b64 s[4:5], 0
	s_mov_b32 s6, exec_lo
	v_cmpx_ne_u64_e32 0, v[4:5]
	s_cbranch_execz .LBB0_8
; %bb.5:                                ;   in Loop: Header=BB0_3 Depth=1
	v_lshlrev_b64 v[13:14], 3, v[29:30]
	v_dual_mov_b32 v2, 0 :: v_dual_mov_b32 v15, v8
	v_dual_mov_b32 v3, 0 :: v_dual_mov_b32 v14, v7
	s_mov_b32 s7, 0
	.p2align	6
.LBB0_6:                                ;   Parent Loop BB0_3 Depth=1
                                        ; =>  This Inner Loop Header: Depth=2
	flat_load_u8 v9, v[14:15]
	v_mov_b32_e32 v17, s11
	v_add_co_u32 v14, vcc_lo, v14, 1
	v_add_co_ci_u32_e32 v15, vcc_lo, 0, v15, vcc_lo
	s_waitcnt vmcnt(0) lgkmcnt(0)
	v_and_b32_e32 v16, 0xffff, v9
	s_delay_alu instid0(VALU_DEP_1) | instskip(SKIP_3) | instid1(VALU_DEP_2)
	v_lshlrev_b64 v[16:17], s4, v[16:17]
	s_add_u32 s4, s4, 8
	s_addc_u32 s5, s5, 0
	v_cmp_eq_u32_e64 s0, s4, v13
	v_or_b32_e32 v3, v17, v3
	s_delay_alu instid0(VALU_DEP_3) | instskip(NEXT) | instid1(VALU_DEP_3)
	v_or_b32_e32 v2, v16, v2
	s_or_b32 s7, s0, s7
	s_delay_alu instid0(SALU_CYCLE_1)
	s_and_not1_b32 exec_lo, exec_lo, s7
	s_cbranch_execnz .LBB0_6
; %bb.7:                                ;   in Loop: Header=BB0_3 Depth=1
	s_or_b32 exec_lo, exec_lo, s7
.LBB0_8:                                ;   in Loop: Header=BB0_3 Depth=1
	s_delay_alu instid0(SALU_CYCLE_1)
	s_or_b32 exec_lo, exec_lo, s6
	s_mov_b32 s4, 0
.LBB0_9:                                ;   in Loop: Header=BB0_3 Depth=1
	s_or_saveexec_b32 s0, s1
	v_dual_mov_b32 v9, s4 :: v_dual_mov_b32 v26, v8
	v_mov_b32_e32 v25, v7
	s_xor_b32 exec_lo, exec_lo, s0
	s_cbranch_execz .LBB0_11
; %bb.10:                               ;   in Loop: Header=BB0_3 Depth=1
	s_waitcnt vmcnt(0)
	flat_load_b64 v[2:3], v[7:8]
	v_add_co_u32 v25, vcc_lo, v7, 8
	v_add_co_ci_u32_e32 v26, vcc_lo, 0, v8, vcc_lo
	s_waitcnt vmcnt(0) lgkmcnt(0)
	v_and_b32_e32 v9, 0xff, v3
	v_and_b32_e32 v13, 0xff00, v3
	;; [unrolled: 1-line block ×4, first 2 shown]
	v_or3_b32 v2, v2, 0, 0
	s_delay_alu instid0(VALU_DEP_4) | instskip(SKIP_1) | instid1(VALU_DEP_2)
	v_or_b32_e32 v13, v9, v13
	v_add_nc_u32_e32 v9, -8, v29
	v_or3_b32 v3, v13, v14, v3
.LBB0_11:                               ;   in Loop: Header=BB0_3 Depth=1
	s_or_b32 exec_lo, exec_lo, s0
                                        ; implicit-def: $vgpr13_vgpr14
                                        ; implicit-def: $sgpr1
	s_delay_alu instid0(SALU_CYCLE_1) | instskip(NEXT) | instid1(VALU_DEP_2)
	s_mov_b32 s0, exec_lo
	v_cmpx_gt_u32_e32 8, v9
	s_xor_b32 s6, exec_lo, s0
	s_cbranch_execz .LBB0_17
; %bb.12:                               ;   in Loop: Header=BB0_3 Depth=1
	v_mov_b32_e32 v13, 0
	v_mov_b32_e32 v14, 0
	s_mov_b32 s7, exec_lo
	v_cmpx_ne_u32_e32 0, v9
	s_cbranch_execz .LBB0_16
; %bb.13:                               ;   in Loop: Header=BB0_3 Depth=1
	v_mov_b32_e32 v13, 0
	v_mov_b32_e32 v14, 0
	s_mov_b64 s[0:1], 0
	s_mov_b32 s13, 0
	s_mov_b64 s[4:5], 0
	.p2align	6
.LBB0_14:                               ;   Parent Loop BB0_3 Depth=1
                                        ; =>  This Inner Loop Header: Depth=2
	s_delay_alu instid0(SALU_CYCLE_1)
	v_add_co_u32 v15, vcc_lo, v25, s4
	v_add_co_ci_u32_e32 v16, vcc_lo, s5, v26, vcc_lo
	s_add_u32 s4, s4, 1
	s_addc_u32 s5, s5, 0
	v_cmp_eq_u32_e32 vcc_lo, s4, v9
	flat_load_u8 v15, v[15:16]
	s_waitcnt vmcnt(0) lgkmcnt(0)
	v_dual_mov_b32 v16, s11 :: v_dual_and_b32 v15, 0xffff, v15
	s_delay_alu instid0(VALU_DEP_1) | instskip(SKIP_3) | instid1(VALU_DEP_1)
	v_lshlrev_b64 v[15:16], s0, v[15:16]
	s_add_u32 s0, s0, 8
	s_addc_u32 s1, s1, 0
	s_or_b32 s13, vcc_lo, s13
	v_or_b32_e32 v14, v16, v14
	s_delay_alu instid0(VALU_DEP_2)
	v_or_b32_e32 v13, v15, v13
	s_and_not1_b32 exec_lo, exec_lo, s13
	s_cbranch_execnz .LBB0_14
; %bb.15:                               ;   in Loop: Header=BB0_3 Depth=1
	s_or_b32 exec_lo, exec_lo, s13
.LBB0_16:                               ;   in Loop: Header=BB0_3 Depth=1
	s_delay_alu instid0(SALU_CYCLE_1)
	s_or_b32 exec_lo, exec_lo, s7
	s_mov_b32 s1, 0
                                        ; implicit-def: $vgpr9
.LBB0_17:                               ;   in Loop: Header=BB0_3 Depth=1
	s_or_saveexec_b32 s0, s6
	v_mov_b32_e32 v17, s1
	s_xor_b32 exec_lo, exec_lo, s0
	s_cbranch_execz .LBB0_19
; %bb.18:                               ;   in Loop: Header=BB0_3 Depth=1
	flat_load_b64 v[13:14], v[25:26]
	v_add_co_u32 v25, vcc_lo, v25, 8
	v_add_nc_u32_e32 v17, -8, v9
	v_add_co_ci_u32_e32 v26, vcc_lo, 0, v26, vcc_lo
	s_waitcnt vmcnt(0) lgkmcnt(0)
	v_and_b32_e32 v15, 0xff, v14
	v_and_b32_e32 v16, 0xff00, v14
	;; [unrolled: 1-line block ×4, first 2 shown]
	v_or3_b32 v13, v13, 0, 0
	s_delay_alu instid0(VALU_DEP_4) | instskip(NEXT) | instid1(VALU_DEP_1)
	v_or_b32_e32 v15, v15, v16
	v_or3_b32 v14, v15, v18, v14
.LBB0_19:                               ;   in Loop: Header=BB0_3 Depth=1
	s_or_b32 exec_lo, exec_lo, s0
                                        ; implicit-def: $sgpr1
	s_delay_alu instid0(SALU_CYCLE_1)
	s_mov_b32 s0, exec_lo
	v_cmpx_gt_u32_e32 8, v17
	s_xor_b32 s6, exec_lo, s0
	s_cbranch_execz .LBB0_25
; %bb.20:                               ;   in Loop: Header=BB0_3 Depth=1
	v_mov_b32_e32 v15, 0
	v_mov_b32_e32 v16, 0
	s_mov_b32 s7, exec_lo
	v_cmpx_ne_u32_e32 0, v17
	s_cbranch_execz .LBB0_24
; %bb.21:                               ;   in Loop: Header=BB0_3 Depth=1
	v_mov_b32_e32 v15, 0
	v_mov_b32_e32 v16, 0
	s_mov_b64 s[0:1], 0
	s_mov_b32 s13, 0
	s_mov_b64 s[4:5], 0
	.p2align	6
.LBB0_22:                               ;   Parent Loop BB0_3 Depth=1
                                        ; =>  This Inner Loop Header: Depth=2
	s_delay_alu instid0(SALU_CYCLE_1)
	v_add_co_u32 v18, vcc_lo, v25, s4
	v_add_co_ci_u32_e32 v19, vcc_lo, s5, v26, vcc_lo
	s_add_u32 s4, s4, 1
	s_addc_u32 s5, s5, 0
	v_cmp_eq_u32_e32 vcc_lo, s4, v17
	flat_load_u8 v9, v[18:19]
	s_waitcnt vmcnt(0) lgkmcnt(0)
	v_dual_mov_b32 v19, s11 :: v_dual_and_b32 v18, 0xffff, v9
	s_delay_alu instid0(VALU_DEP_1) | instskip(SKIP_3) | instid1(VALU_DEP_1)
	v_lshlrev_b64 v[18:19], s0, v[18:19]
	s_add_u32 s0, s0, 8
	s_addc_u32 s1, s1, 0
	s_or_b32 s13, vcc_lo, s13
	v_or_b32_e32 v16, v19, v16
	s_delay_alu instid0(VALU_DEP_2)
	v_or_b32_e32 v15, v18, v15
	s_and_not1_b32 exec_lo, exec_lo, s13
	s_cbranch_execnz .LBB0_22
; %bb.23:                               ;   in Loop: Header=BB0_3 Depth=1
	s_or_b32 exec_lo, exec_lo, s13
.LBB0_24:                               ;   in Loop: Header=BB0_3 Depth=1
	s_delay_alu instid0(SALU_CYCLE_1)
	s_or_b32 exec_lo, exec_lo, s7
	s_mov_b32 s1, 0
                                        ; implicit-def: $vgpr17
.LBB0_25:                               ;   in Loop: Header=BB0_3 Depth=1
	s_or_saveexec_b32 s0, s6
	v_mov_b32_e32 v9, s1
	s_xor_b32 exec_lo, exec_lo, s0
	s_cbranch_execz .LBB0_27
; %bb.26:                               ;   in Loop: Header=BB0_3 Depth=1
	flat_load_b64 v[15:16], v[25:26]
	v_add_co_u32 v25, vcc_lo, v25, 8
	v_add_co_ci_u32_e32 v26, vcc_lo, 0, v26, vcc_lo
	s_waitcnt vmcnt(0) lgkmcnt(0)
	v_and_b32_e32 v9, 0xff, v16
	v_and_b32_e32 v18, 0xff00, v16
	;; [unrolled: 1-line block ×4, first 2 shown]
	v_or3_b32 v15, v15, 0, 0
	s_delay_alu instid0(VALU_DEP_4) | instskip(SKIP_1) | instid1(VALU_DEP_2)
	v_or_b32_e32 v18, v9, v18
	v_add_nc_u32_e32 v9, -8, v17
	v_or3_b32 v16, v18, v19, v16
.LBB0_27:                               ;   in Loop: Header=BB0_3 Depth=1
	s_or_b32 exec_lo, exec_lo, s0
                                        ; implicit-def: $vgpr17_vgpr18
                                        ; implicit-def: $sgpr1
	s_delay_alu instid0(SALU_CYCLE_1) | instskip(NEXT) | instid1(VALU_DEP_1)
	s_mov_b32 s0, exec_lo
	v_cmpx_gt_u32_e32 8, v9
	s_xor_b32 s6, exec_lo, s0
	s_cbranch_execz .LBB0_33
; %bb.28:                               ;   in Loop: Header=BB0_3 Depth=1
	v_mov_b32_e32 v17, 0
	v_mov_b32_e32 v18, 0
	s_mov_b32 s7, exec_lo
	v_cmpx_ne_u32_e32 0, v9
	s_cbranch_execz .LBB0_32
; %bb.29:                               ;   in Loop: Header=BB0_3 Depth=1
	v_mov_b32_e32 v17, 0
	v_mov_b32_e32 v18, 0
	s_mov_b64 s[0:1], 0
	s_mov_b32 s13, 0
	s_mov_b64 s[4:5], 0
	.p2align	6
.LBB0_30:                               ;   Parent Loop BB0_3 Depth=1
                                        ; =>  This Inner Loop Header: Depth=2
	s_delay_alu instid0(SALU_CYCLE_1)
	v_add_co_u32 v19, vcc_lo, v25, s4
	v_add_co_ci_u32_e32 v20, vcc_lo, s5, v26, vcc_lo
	s_add_u32 s4, s4, 1
	s_addc_u32 s5, s5, 0
	v_cmp_eq_u32_e32 vcc_lo, s4, v9
	flat_load_u8 v19, v[19:20]
	s_waitcnt vmcnt(0) lgkmcnt(0)
	v_dual_mov_b32 v20, s11 :: v_dual_and_b32 v19, 0xffff, v19
	s_delay_alu instid0(VALU_DEP_1) | instskip(SKIP_3) | instid1(VALU_DEP_1)
	v_lshlrev_b64 v[19:20], s0, v[19:20]
	s_add_u32 s0, s0, 8
	s_addc_u32 s1, s1, 0
	s_or_b32 s13, vcc_lo, s13
	v_or_b32_e32 v18, v20, v18
	s_delay_alu instid0(VALU_DEP_2)
	v_or_b32_e32 v17, v19, v17
	s_and_not1_b32 exec_lo, exec_lo, s13
	s_cbranch_execnz .LBB0_30
; %bb.31:                               ;   in Loop: Header=BB0_3 Depth=1
	s_or_b32 exec_lo, exec_lo, s13
.LBB0_32:                               ;   in Loop: Header=BB0_3 Depth=1
	s_delay_alu instid0(SALU_CYCLE_1)
	s_or_b32 exec_lo, exec_lo, s7
	s_mov_b32 s1, 0
                                        ; implicit-def: $vgpr9
.LBB0_33:                               ;   in Loop: Header=BB0_3 Depth=1
	s_or_saveexec_b32 s0, s6
	v_mov_b32_e32 v21, s1
	s_xor_b32 exec_lo, exec_lo, s0
	s_cbranch_execz .LBB0_35
; %bb.34:                               ;   in Loop: Header=BB0_3 Depth=1
	flat_load_b64 v[17:18], v[25:26]
	v_add_co_u32 v25, vcc_lo, v25, 8
	v_add_nc_u32_e32 v21, -8, v9
	v_add_co_ci_u32_e32 v26, vcc_lo, 0, v26, vcc_lo
	s_waitcnt vmcnt(0) lgkmcnt(0)
	v_and_b32_e32 v19, 0xff, v18
	v_and_b32_e32 v20, 0xff00, v18
	;; [unrolled: 1-line block ×4, first 2 shown]
	v_or3_b32 v17, v17, 0, 0
	s_delay_alu instid0(VALU_DEP_4) | instskip(NEXT) | instid1(VALU_DEP_1)
	v_or_b32_e32 v19, v19, v20
	v_or3_b32 v18, v19, v22, v18
.LBB0_35:                               ;   in Loop: Header=BB0_3 Depth=1
	s_or_b32 exec_lo, exec_lo, s0
                                        ; implicit-def: $sgpr1
	s_delay_alu instid0(SALU_CYCLE_1)
	s_mov_b32 s0, exec_lo
	v_cmpx_gt_u32_e32 8, v21
	s_xor_b32 s6, exec_lo, s0
	s_cbranch_execz .LBB0_41
; %bb.36:                               ;   in Loop: Header=BB0_3 Depth=1
	v_mov_b32_e32 v19, 0
	v_mov_b32_e32 v20, 0
	s_mov_b32 s7, exec_lo
	v_cmpx_ne_u32_e32 0, v21
	s_cbranch_execz .LBB0_40
; %bb.37:                               ;   in Loop: Header=BB0_3 Depth=1
	v_mov_b32_e32 v19, 0
	v_mov_b32_e32 v20, 0
	s_mov_b64 s[0:1], 0
	s_mov_b32 s13, 0
	s_mov_b64 s[4:5], 0
	.p2align	6
.LBB0_38:                               ;   Parent Loop BB0_3 Depth=1
                                        ; =>  This Inner Loop Header: Depth=2
	s_delay_alu instid0(SALU_CYCLE_1)
	v_add_co_u32 v22, vcc_lo, v25, s4
	v_add_co_ci_u32_e32 v23, vcc_lo, s5, v26, vcc_lo
	s_add_u32 s4, s4, 1
	s_addc_u32 s5, s5, 0
	v_cmp_eq_u32_e32 vcc_lo, s4, v21
	flat_load_u8 v9, v[22:23]
	s_waitcnt vmcnt(0) lgkmcnt(0)
	v_dual_mov_b32 v23, s11 :: v_dual_and_b32 v22, 0xffff, v9
	s_delay_alu instid0(VALU_DEP_1) | instskip(SKIP_3) | instid1(VALU_DEP_1)
	v_lshlrev_b64 v[22:23], s0, v[22:23]
	s_add_u32 s0, s0, 8
	s_addc_u32 s1, s1, 0
	s_or_b32 s13, vcc_lo, s13
	v_or_b32_e32 v20, v23, v20
	s_delay_alu instid0(VALU_DEP_2)
	v_or_b32_e32 v19, v22, v19
	s_and_not1_b32 exec_lo, exec_lo, s13
	s_cbranch_execnz .LBB0_38
; %bb.39:                               ;   in Loop: Header=BB0_3 Depth=1
	s_or_b32 exec_lo, exec_lo, s13
.LBB0_40:                               ;   in Loop: Header=BB0_3 Depth=1
	s_delay_alu instid0(SALU_CYCLE_1)
	s_or_b32 exec_lo, exec_lo, s7
	s_mov_b32 s1, 0
                                        ; implicit-def: $vgpr21
.LBB0_41:                               ;   in Loop: Header=BB0_3 Depth=1
	s_or_saveexec_b32 s0, s6
	v_mov_b32_e32 v9, s1
	s_xor_b32 exec_lo, exec_lo, s0
	s_cbranch_execz .LBB0_43
; %bb.42:                               ;   in Loop: Header=BB0_3 Depth=1
	flat_load_b64 v[19:20], v[25:26]
	v_add_co_u32 v25, vcc_lo, v25, 8
	v_add_co_ci_u32_e32 v26, vcc_lo, 0, v26, vcc_lo
	s_waitcnt vmcnt(0) lgkmcnt(0)
	v_and_b32_e32 v9, 0xff, v20
	v_and_b32_e32 v22, 0xff00, v20
	;; [unrolled: 1-line block ×4, first 2 shown]
	v_or3_b32 v19, v19, 0, 0
	s_delay_alu instid0(VALU_DEP_4) | instskip(SKIP_1) | instid1(VALU_DEP_2)
	v_or_b32_e32 v22, v9, v22
	v_add_nc_u32_e32 v9, -8, v21
	v_or3_b32 v20, v22, v23, v20
.LBB0_43:                               ;   in Loop: Header=BB0_3 Depth=1
	s_or_b32 exec_lo, exec_lo, s0
                                        ; implicit-def: $vgpr21_vgpr22
                                        ; implicit-def: $sgpr1
	s_delay_alu instid0(SALU_CYCLE_1) | instskip(NEXT) | instid1(VALU_DEP_1)
	s_mov_b32 s0, exec_lo
	v_cmpx_gt_u32_e32 8, v9
	s_xor_b32 s6, exec_lo, s0
	s_cbranch_execz .LBB0_49
; %bb.44:                               ;   in Loop: Header=BB0_3 Depth=1
	v_mov_b32_e32 v21, 0
	v_mov_b32_e32 v22, 0
	s_mov_b32 s7, exec_lo
	v_cmpx_ne_u32_e32 0, v9
	s_cbranch_execz .LBB0_48
; %bb.45:                               ;   in Loop: Header=BB0_3 Depth=1
	v_mov_b32_e32 v21, 0
	v_mov_b32_e32 v22, 0
	s_mov_b64 s[0:1], 0
	s_mov_b32 s13, 0
	s_mov_b64 s[4:5], 0
	.p2align	6
.LBB0_46:                               ;   Parent Loop BB0_3 Depth=1
                                        ; =>  This Inner Loop Header: Depth=2
	s_delay_alu instid0(SALU_CYCLE_1)
	v_add_co_u32 v23, vcc_lo, v25, s4
	v_add_co_ci_u32_e32 v24, vcc_lo, s5, v26, vcc_lo
	s_add_u32 s4, s4, 1
	s_addc_u32 s5, s5, 0
	v_cmp_eq_u32_e32 vcc_lo, s4, v9
	flat_load_u8 v23, v[23:24]
	s_waitcnt vmcnt(0) lgkmcnt(0)
	v_dual_mov_b32 v24, s11 :: v_dual_and_b32 v23, 0xffff, v23
	s_delay_alu instid0(VALU_DEP_1) | instskip(SKIP_3) | instid1(VALU_DEP_1)
	v_lshlrev_b64 v[23:24], s0, v[23:24]
	s_add_u32 s0, s0, 8
	s_addc_u32 s1, s1, 0
	s_or_b32 s13, vcc_lo, s13
	v_or_b32_e32 v22, v24, v22
	s_delay_alu instid0(VALU_DEP_2)
	v_or_b32_e32 v21, v23, v21
	s_and_not1_b32 exec_lo, exec_lo, s13
	s_cbranch_execnz .LBB0_46
; %bb.47:                               ;   in Loop: Header=BB0_3 Depth=1
	s_or_b32 exec_lo, exec_lo, s13
.LBB0_48:                               ;   in Loop: Header=BB0_3 Depth=1
	s_delay_alu instid0(SALU_CYCLE_1)
	s_or_b32 exec_lo, exec_lo, s7
	s_mov_b32 s1, 0
                                        ; implicit-def: $vgpr9
.LBB0_49:                               ;   in Loop: Header=BB0_3 Depth=1
	s_or_saveexec_b32 s0, s6
	v_mov_b32_e32 v27, s1
	s_xor_b32 exec_lo, exec_lo, s0
	s_cbranch_execz .LBB0_51
; %bb.50:                               ;   in Loop: Header=BB0_3 Depth=1
	flat_load_b64 v[21:22], v[25:26]
	v_add_co_u32 v25, vcc_lo, v25, 8
	v_add_nc_u32_e32 v27, -8, v9
	v_add_co_ci_u32_e32 v26, vcc_lo, 0, v26, vcc_lo
	s_waitcnt vmcnt(0) lgkmcnt(0)
	v_and_b32_e32 v23, 0xff, v22
	v_and_b32_e32 v24, 0xff00, v22
	;; [unrolled: 1-line block ×4, first 2 shown]
	v_or3_b32 v21, v21, 0, 0
	s_delay_alu instid0(VALU_DEP_4) | instskip(NEXT) | instid1(VALU_DEP_1)
	v_or_b32_e32 v23, v23, v24
	v_or3_b32 v22, v23, v28, v22
.LBB0_51:                               ;   in Loop: Header=BB0_3 Depth=1
	s_or_b32 exec_lo, exec_lo, s0
	s_delay_alu instid0(SALU_CYCLE_1)
	s_mov_b32 s0, exec_lo
	v_cmpx_gt_u32_e32 8, v27
	s_xor_b32 s4, exec_lo, s0
	s_cbranch_execz .LBB0_57
; %bb.52:                               ;   in Loop: Header=BB0_3 Depth=1
	v_mov_b32_e32 v23, 0
	v_mov_b32_e32 v24, 0
	s_mov_b32 s5, exec_lo
	v_cmpx_ne_u32_e32 0, v27
	s_cbranch_execz .LBB0_56
; %bb.53:                               ;   in Loop: Header=BB0_3 Depth=1
	v_mov_b32_e32 v23, 0
	v_mov_b32_e32 v24, 0
	s_mov_b64 s[0:1], 0
	s_mov_b32 s6, 0
	.p2align	6
.LBB0_54:                               ;   Parent Loop BB0_3 Depth=1
                                        ; =>  This Inner Loop Header: Depth=2
	flat_load_u8 v9, v[25:26]
	v_dual_mov_b32 v32, s11 :: v_dual_add_nc_u32 v27, -1, v27
	v_add_co_u32 v25, vcc_lo, v25, 1
	v_add_co_ci_u32_e32 v26, vcc_lo, 0, v26, vcc_lo
	s_delay_alu instid0(VALU_DEP_3) | instskip(SKIP_2) | instid1(VALU_DEP_1)
	v_cmp_eq_u32_e32 vcc_lo, 0, v27
	s_waitcnt vmcnt(0) lgkmcnt(0)
	v_and_b32_e32 v31, 0xffff, v9
	v_lshlrev_b64 v[31:32], s0, v[31:32]
	s_add_u32 s0, s0, 8
	s_addc_u32 s1, s1, 0
	s_or_b32 s6, vcc_lo, s6
	s_delay_alu instid0(VALU_DEP_1) | instskip(NEXT) | instid1(VALU_DEP_2)
	v_or_b32_e32 v24, v32, v24
	v_or_b32_e32 v23, v31, v23
	s_and_not1_b32 exec_lo, exec_lo, s6
	s_cbranch_execnz .LBB0_54
; %bb.55:                               ;   in Loop: Header=BB0_3 Depth=1
	s_or_b32 exec_lo, exec_lo, s6
.LBB0_56:                               ;   in Loop: Header=BB0_3 Depth=1
	s_delay_alu instid0(SALU_CYCLE_1)
	s_or_b32 exec_lo, exec_lo, s5
                                        ; implicit-def: $vgpr25_vgpr26
.LBB0_57:                               ;   in Loop: Header=BB0_3 Depth=1
	s_and_not1_saveexec_b32 s0, s4
	s_cbranch_execz .LBB0_59
; %bb.58:                               ;   in Loop: Header=BB0_3 Depth=1
	flat_load_b64 v[23:24], v[25:26]
	s_waitcnt vmcnt(0) lgkmcnt(0)
	v_and_b32_e32 v9, 0xff, v24
	v_and_b32_e32 v25, 0xff00, v24
	;; [unrolled: 1-line block ×4, first 2 shown]
	v_or3_b32 v23, v23, 0, 0
	s_delay_alu instid0(VALU_DEP_4) | instskip(NEXT) | instid1(VALU_DEP_1)
	v_or_b32_e32 v9, v9, v25
	v_or3_b32 v24, v9, v26, v24
.LBB0_59:                               ;   in Loop: Header=BB0_3 Depth=1
	s_or_b32 exec_lo, exec_lo, s0
	v_readfirstlane_b32 s0, v33
	v_mov_b32_e32 v31, 0
	v_mov_b32_e32 v32, 0
	s_delay_alu instid0(VALU_DEP_3) | instskip(NEXT) | instid1(VALU_DEP_1)
	v_cmp_eq_u32_e64 s0, s0, v33
	s_and_saveexec_b32 s1, s0
	s_cbranch_execz .LBB0_65
; %bb.60:                               ;   in Loop: Header=BB0_3 Depth=1
	s_waitcnt lgkmcnt(0)
	global_load_b64 v[27:28], v10, s[2:3] offset:24 glc
	s_waitcnt vmcnt(0)
	buffer_gl1_inv
	buffer_gl0_inv
	s_clause 0x1
	global_load_b64 v[25:26], v10, s[2:3] offset:40
	global_load_b64 v[31:32], v10, s[2:3]
	s_mov_b32 s4, exec_lo
	s_waitcnt vmcnt(1)
	v_and_b32_e32 v9, v26, v28
	v_and_b32_e32 v25, v25, v27
	s_delay_alu instid0(VALU_DEP_2) | instskip(NEXT) | instid1(VALU_DEP_2)
	v_mul_lo_u32 v9, v9, 24
	v_mul_hi_u32 v26, v25, 24
	v_mul_lo_u32 v25, v25, 24
	s_delay_alu instid0(VALU_DEP_2) | instskip(SKIP_1) | instid1(VALU_DEP_2)
	v_add_nc_u32_e32 v9, v26, v9
	s_waitcnt vmcnt(0)
	v_add_co_u32 v25, vcc_lo, v31, v25
	s_delay_alu instid0(VALU_DEP_2)
	v_add_co_ci_u32_e32 v26, vcc_lo, v32, v9, vcc_lo
	global_load_b64 v[25:26], v[25:26], off glc
	s_waitcnt vmcnt(0)
	global_atomic_cmpswap_b64 v[31:32], v10, v[25:28], s[2:3] offset:24 glc
	s_waitcnt vmcnt(0)
	buffer_gl1_inv
	buffer_gl0_inv
	v_cmpx_ne_u64_e64 v[31:32], v[27:28]
	s_cbranch_execz .LBB0_64
; %bb.61:                               ;   in Loop: Header=BB0_3 Depth=1
	s_mov_b32 s5, 0
	.p2align	6
.LBB0_62:                               ;   Parent Loop BB0_3 Depth=1
                                        ; =>  This Inner Loop Header: Depth=2
	s_sleep 1
	s_clause 0x1
	global_load_b64 v[25:26], v10, s[2:3] offset:40
	global_load_b64 v[34:35], v10, s[2:3]
	v_dual_mov_b32 v27, v31 :: v_dual_mov_b32 v28, v32
	s_waitcnt vmcnt(1)
	s_delay_alu instid0(VALU_DEP_1) | instskip(SKIP_1) | instid1(VALU_DEP_1)
	v_and_b32_e32 v9, v25, v27
	s_waitcnt vmcnt(0)
	v_mad_u64_u32 v[31:32], null, v9, 24, v[34:35]
	s_delay_alu instid0(VALU_DEP_1) | instskip(NEXT) | instid1(VALU_DEP_1)
	v_dual_mov_b32 v9, v32 :: v_dual_and_b32 v34, v26, v28
	v_mad_u64_u32 v[25:26], null, v34, 24, v[9:10]
	s_delay_alu instid0(VALU_DEP_1)
	v_mov_b32_e32 v32, v25
	global_load_b64 v[25:26], v[31:32], off glc
	s_waitcnt vmcnt(0)
	global_atomic_cmpswap_b64 v[31:32], v10, v[25:28], s[2:3] offset:24 glc
	s_waitcnt vmcnt(0)
	buffer_gl1_inv
	buffer_gl0_inv
	v_cmp_eq_u64_e32 vcc_lo, v[31:32], v[27:28]
	s_or_b32 s5, vcc_lo, s5
	s_delay_alu instid0(SALU_CYCLE_1)
	s_and_not1_b32 exec_lo, exec_lo, s5
	s_cbranch_execnz .LBB0_62
; %bb.63:                               ;   in Loop: Header=BB0_3 Depth=1
	s_or_b32 exec_lo, exec_lo, s5
.LBB0_64:                               ;   in Loop: Header=BB0_3 Depth=1
	s_delay_alu instid0(SALU_CYCLE_1)
	s_or_b32 exec_lo, exec_lo, s4
.LBB0_65:                               ;   in Loop: Header=BB0_3 Depth=1
	s_delay_alu instid0(SALU_CYCLE_1)
	s_or_b32 exec_lo, exec_lo, s1
	s_waitcnt lgkmcnt(0)
	s_clause 0x1
	global_load_b64 v[34:35], v10, s[2:3] offset:40
	global_load_b128 v[25:28], v10, s[2:3]
	v_readfirstlane_b32 s4, v31
	v_readfirstlane_b32 s5, v32
	s_mov_b32 s1, exec_lo
	s_waitcnt vmcnt(1)
	v_readfirstlane_b32 s6, v34
	v_readfirstlane_b32 s7, v35
	s_delay_alu instid0(VALU_DEP_1) | instskip(NEXT) | instid1(SALU_CYCLE_1)
	s_and_b64 s[6:7], s[4:5], s[6:7]
	s_mul_i32 s13, s7, 24
	s_mul_hi_u32 s14, s6, 24
	s_mul_i32 s15, s6, 24
	s_add_i32 s14, s14, s13
	s_waitcnt vmcnt(0)
	v_add_co_u32 v31, vcc_lo, v25, s15
	v_add_co_ci_u32_e32 v32, vcc_lo, s14, v26, vcc_lo
	s_and_saveexec_b32 s13, s0
	s_cbranch_execz .LBB0_67
; %bb.66:                               ;   in Loop: Header=BB0_3 Depth=1
	v_mov_b32_e32 v9, s1
	global_store_b128 v[31:32], v[9:12], off offset:8
.LBB0_67:                               ;   in Loop: Header=BB0_3 Depth=1
	s_or_b32 exec_lo, exec_lo, s13
	v_cmp_lt_u64_e32 vcc_lo, 56, v[4:5]
	v_or_b32_e32 v9, 0, v1
	v_or_b32_e32 v34, v0, v6
	v_lshl_add_u32 v35, v29, 2, 28
	s_lshl_b64 s[6:7], s[6:7], 12
	s_delay_alu instid0(SALU_CYCLE_1) | instskip(NEXT) | instid1(VALU_DEP_1)
	v_add_co_u32 v27, s1, v27, s6
	v_add_co_ci_u32_e64 v28, s1, s7, v28, s1
	v_dual_cndmask_b32 v1, v9, v1 :: v_dual_cndmask_b32 v0, v34, v0
	v_and_b32_e32 v9, 0x1e0, v35
	v_lshlrev_b32_e32 v34, 6, v33
	v_readfirstlane_b32 s6, v27
	v_readfirstlane_b32 s7, v28
	s_delay_alu instid0(VALU_DEP_4)
	v_and_or_b32 v0, 0xffffff1f, v0, v9
	s_clause 0x3
	global_store_b128 v34, v[0:3], s[6:7]
	global_store_b128 v34, v[13:16], s[6:7] offset:16
	global_store_b128 v34, v[17:20], s[6:7] offset:32
	;; [unrolled: 1-line block ×3, first 2 shown]
	s_and_saveexec_b32 s1, s0
	s_cbranch_execz .LBB0_75
; %bb.68:                               ;   in Loop: Header=BB0_3 Depth=1
	s_clause 0x1
	global_load_b64 v[17:18], v10, s[2:3] offset:32 glc
	global_load_b64 v[0:1], v10, s[2:3] offset:40
	v_dual_mov_b32 v15, s4 :: v_dual_mov_b32 v16, s5
	s_waitcnt vmcnt(0)
	v_readfirstlane_b32 s6, v0
	v_readfirstlane_b32 s7, v1
	s_delay_alu instid0(VALU_DEP_1) | instskip(NEXT) | instid1(SALU_CYCLE_1)
	s_and_b64 s[6:7], s[6:7], s[4:5]
	s_mul_i32 s7, s7, 24
	s_mul_hi_u32 s13, s6, 24
	s_mul_i32 s6, s6, 24
	s_add_i32 s13, s13, s7
	v_add_co_u32 v13, vcc_lo, v25, s6
	v_add_co_ci_u32_e32 v14, vcc_lo, s13, v26, vcc_lo
	s_mov_b32 s6, exec_lo
	global_store_b64 v[13:14], v[17:18], off
	s_waitcnt_vscnt null, 0x0
	global_atomic_cmpswap_b64 v[2:3], v10, v[15:18], s[2:3] offset:32 glc
	s_waitcnt vmcnt(0)
	v_cmpx_ne_u64_e64 v[2:3], v[17:18]
	s_cbranch_execz .LBB0_71
; %bb.69:                               ;   in Loop: Header=BB0_3 Depth=1
	s_mov_b32 s7, 0
.LBB0_70:                               ;   Parent Loop BB0_3 Depth=1
                                        ; =>  This Inner Loop Header: Depth=2
	v_dual_mov_b32 v0, s4 :: v_dual_mov_b32 v1, s5
	s_sleep 1
	global_store_b64 v[13:14], v[2:3], off
	s_waitcnt_vscnt null, 0x0
	global_atomic_cmpswap_b64 v[0:1], v10, v[0:3], s[2:3] offset:32 glc
	s_waitcnt vmcnt(0)
	v_cmp_eq_u64_e32 vcc_lo, v[0:1], v[2:3]
	v_dual_mov_b32 v3, v1 :: v_dual_mov_b32 v2, v0
	s_or_b32 s7, vcc_lo, s7
	s_delay_alu instid0(SALU_CYCLE_1)
	s_and_not1_b32 exec_lo, exec_lo, s7
	s_cbranch_execnz .LBB0_70
.LBB0_71:                               ;   in Loop: Header=BB0_3 Depth=1
	s_or_b32 exec_lo, exec_lo, s6
	global_load_b64 v[0:1], v10, s[2:3] offset:16
	s_mov_b32 s7, exec_lo
	s_mov_b32 s6, exec_lo
	v_mbcnt_lo_u32_b32 v2, s7, 0
	s_delay_alu instid0(VALU_DEP_1)
	v_cmpx_eq_u32_e32 0, v2
	s_cbranch_execz .LBB0_73
; %bb.72:                               ;   in Loop: Header=BB0_3 Depth=1
	s_bcnt1_i32_b32 s7, s7
	s_delay_alu instid0(SALU_CYCLE_1)
	v_mov_b32_e32 v9, s7
	s_waitcnt vmcnt(0)
	global_atomic_add_u64 v[0:1], v[9:10], off offset:8
.LBB0_73:                               ;   in Loop: Header=BB0_3 Depth=1
	s_or_b32 exec_lo, exec_lo, s6
	s_waitcnt vmcnt(0)
	global_load_b64 v[2:3], v[0:1], off offset:16
	s_waitcnt vmcnt(0)
	v_cmp_eq_u64_e32 vcc_lo, 0, v[2:3]
	s_cbranch_vccnz .LBB0_75
; %bb.74:                               ;   in Loop: Header=BB0_3 Depth=1
	global_load_b32 v9, v[0:1], off offset:24
	s_waitcnt vmcnt(0)
	v_and_b32_e32 v0, 0xffffff, v9
	s_waitcnt_vscnt null, 0x0
	global_store_b64 v[2:3], v[9:10], off
	v_readfirstlane_b32 m0, v0
	s_sendmsg sendmsg(MSG_INTERRUPT)
.LBB0_75:                               ;   in Loop: Header=BB0_3 Depth=1
	s_or_b32 exec_lo, exec_lo, s1
	v_add_co_u32 v0, vcc_lo, v27, v34
	v_add_co_ci_u32_e32 v1, vcc_lo, 0, v28, vcc_lo
	s_branch .LBB0_79
	.p2align	6
.LBB0_76:                               ;   in Loop: Header=BB0_79 Depth=2
	s_or_b32 exec_lo, exec_lo, s1
	s_delay_alu instid0(VALU_DEP_1) | instskip(NEXT) | instid1(VALU_DEP_1)
	v_readfirstlane_b32 s1, v2
	s_cmp_eq_u32 s1, 0
	s_cbranch_scc1 .LBB0_78
; %bb.77:                               ;   in Loop: Header=BB0_79 Depth=2
	s_sleep 1
	s_cbranch_execnz .LBB0_79
	s_branch .LBB0_81
	.p2align	6
.LBB0_78:                               ;   in Loop: Header=BB0_3 Depth=1
	s_branch .LBB0_81
.LBB0_79:                               ;   Parent Loop BB0_3 Depth=1
                                        ; =>  This Inner Loop Header: Depth=2
	v_mov_b32_e32 v2, 1
	s_and_saveexec_b32 s1, s0
	s_cbranch_execz .LBB0_76
; %bb.80:                               ;   in Loop: Header=BB0_79 Depth=2
	global_load_b32 v2, v[31:32], off offset:20 glc
	s_waitcnt vmcnt(0)
	buffer_gl1_inv
	buffer_gl0_inv
	v_and_b32_e32 v2, 1, v2
	s_branch .LBB0_76
.LBB0_81:                               ;   in Loop: Header=BB0_3 Depth=1
	global_load_b128 v[0:3], v[0:1], off
	s_and_saveexec_b32 s1, s0
	s_cbranch_execz .LBB0_2
; %bb.82:                               ;   in Loop: Header=BB0_3 Depth=1
	s_clause 0x2
	global_load_b64 v[2:3], v10, s[2:3] offset:40
	global_load_b64 v[17:18], v10, s[2:3] offset:24 glc
	global_load_b64 v[15:16], v10, s[2:3]
	s_waitcnt vmcnt(2)
	v_add_co_u32 v9, vcc_lo, v2, 1
	v_add_co_ci_u32_e32 v19, vcc_lo, 0, v3, vcc_lo
	s_delay_alu instid0(VALU_DEP_2) | instskip(NEXT) | instid1(VALU_DEP_2)
	v_add_co_u32 v13, vcc_lo, v9, s4
	v_add_co_ci_u32_e32 v14, vcc_lo, s5, v19, vcc_lo
	s_delay_alu instid0(VALU_DEP_1) | instskip(SKIP_1) | instid1(VALU_DEP_1)
	v_cmp_eq_u64_e32 vcc_lo, 0, v[13:14]
	v_dual_cndmask_b32 v14, v14, v19 :: v_dual_cndmask_b32 v13, v13, v9
	v_and_b32_e32 v3, v14, v3
	s_delay_alu instid0(VALU_DEP_2) | instskip(NEXT) | instid1(VALU_DEP_2)
	v_and_b32_e32 v2, v13, v2
	v_mul_lo_u32 v3, v3, 24
	s_delay_alu instid0(VALU_DEP_2) | instskip(SKIP_1) | instid1(VALU_DEP_2)
	v_mul_hi_u32 v9, v2, 24
	v_mul_lo_u32 v2, v2, 24
	v_add_nc_u32_e32 v3, v9, v3
	s_waitcnt vmcnt(0)
	s_delay_alu instid0(VALU_DEP_2) | instskip(SKIP_1) | instid1(VALU_DEP_3)
	v_add_co_u32 v2, vcc_lo, v15, v2
	v_mov_b32_e32 v15, v17
	v_add_co_ci_u32_e32 v3, vcc_lo, v16, v3, vcc_lo
	v_mov_b32_e32 v16, v18
	global_store_b64 v[2:3], v[17:18], off
	s_waitcnt_vscnt null, 0x0
	global_atomic_cmpswap_b64 v[15:16], v10, v[13:16], s[2:3] offset:24 glc
	s_waitcnt vmcnt(0)
	v_cmp_ne_u64_e32 vcc_lo, v[15:16], v[17:18]
	s_and_b32 exec_lo, exec_lo, vcc_lo
	s_cbranch_execz .LBB0_2
; %bb.83:                               ;   in Loop: Header=BB0_3 Depth=1
	s_mov_b32 s0, 0
.LBB0_84:                               ;   Parent Loop BB0_3 Depth=1
                                        ; =>  This Inner Loop Header: Depth=2
	s_sleep 1
	global_store_b64 v[2:3], v[15:16], off
	s_waitcnt_vscnt null, 0x0
	global_atomic_cmpswap_b64 v[17:18], v10, v[13:16], s[2:3] offset:24 glc
	s_waitcnt vmcnt(0)
	v_cmp_eq_u64_e32 vcc_lo, v[17:18], v[15:16]
	v_dual_mov_b32 v15, v17 :: v_dual_mov_b32 v16, v18
	s_or_b32 s0, vcc_lo, s0
	s_delay_alu instid0(SALU_CYCLE_1)
	s_and_not1_b32 exec_lo, exec_lo, s0
	s_cbranch_execnz .LBB0_84
	s_branch .LBB0_2
.LBB0_85:
	s_or_b32 exec_lo, exec_lo, s12
                                        ; implicit-def: $vgpr0
                                        ; implicit-def: $vgpr33
                                        ; implicit-def: $vgpr1
.LBB0_86:
	s_and_not1_saveexec_b32 s1, s10
	s_cbranch_execz .LBB0_108
; %bb.87:
	s_load_b64 s[2:3], s[8:9], 0x50
	v_readfirstlane_b32 s0, v33
	v_mov_b32_e32 v8, 0
	v_mov_b32_e32 v9, 0
	s_delay_alu instid0(VALU_DEP_3) | instskip(NEXT) | instid1(VALU_DEP_1)
	v_cmp_eq_u32_e64 s0, s0, v33
	s_and_saveexec_b32 s4, s0
	s_cbranch_execz .LBB0_93
; %bb.88:
	s_waitcnt vmcnt(0)
	v_mov_b32_e32 v2, 0
	s_mov_b32 s5, exec_lo
	s_waitcnt lgkmcnt(0)
	global_load_b64 v[5:6], v2, s[2:3] offset:24 glc
	s_waitcnt vmcnt(0)
	buffer_gl1_inv
	buffer_gl0_inv
	s_clause 0x1
	global_load_b64 v[3:4], v2, s[2:3] offset:40
	global_load_b64 v[7:8], v2, s[2:3]
	s_waitcnt vmcnt(1)
	v_and_b32_e32 v3, v3, v5
	v_and_b32_e32 v4, v4, v6
	s_delay_alu instid0(VALU_DEP_2) | instskip(NEXT) | instid1(VALU_DEP_2)
	v_mul_hi_u32 v9, v3, 24
	v_mul_lo_u32 v4, v4, 24
	v_mul_lo_u32 v3, v3, 24
	s_delay_alu instid0(VALU_DEP_2) | instskip(SKIP_1) | instid1(VALU_DEP_2)
	v_add_nc_u32_e32 v4, v9, v4
	s_waitcnt vmcnt(0)
	v_add_co_u32 v3, vcc_lo, v7, v3
	s_delay_alu instid0(VALU_DEP_2)
	v_add_co_ci_u32_e32 v4, vcc_lo, v8, v4, vcc_lo
	global_load_b64 v[3:4], v[3:4], off glc
	s_waitcnt vmcnt(0)
	global_atomic_cmpswap_b64 v[8:9], v2, v[3:6], s[2:3] offset:24 glc
	s_waitcnt vmcnt(0)
	buffer_gl1_inv
	buffer_gl0_inv
	v_cmpx_ne_u64_e64 v[8:9], v[5:6]
	s_cbranch_execz .LBB0_92
; %bb.89:
	s_mov_b32 s6, 0
	.p2align	6
.LBB0_90:                               ; =>This Inner Loop Header: Depth=1
	s_sleep 1
	s_clause 0x1
	global_load_b64 v[3:4], v2, s[2:3] offset:40
	global_load_b64 v[10:11], v2, s[2:3]
	v_dual_mov_b32 v5, v8 :: v_dual_mov_b32 v6, v9
	s_waitcnt vmcnt(1)
	s_delay_alu instid0(VALU_DEP_1) | instskip(NEXT) | instid1(VALU_DEP_2)
	v_and_b32_e32 v3, v3, v5
	v_and_b32_e32 v4, v4, v6
	s_waitcnt vmcnt(0)
	s_delay_alu instid0(VALU_DEP_2) | instskip(NEXT) | instid1(VALU_DEP_1)
	v_mad_u64_u32 v[7:8], null, v3, 24, v[10:11]
	v_mov_b32_e32 v3, v8
	s_delay_alu instid0(VALU_DEP_1)
	v_mad_u64_u32 v[8:9], null, v4, 24, v[3:4]
	global_load_b64 v[3:4], v[7:8], off glc
	s_waitcnt vmcnt(0)
	global_atomic_cmpswap_b64 v[8:9], v2, v[3:6], s[2:3] offset:24 glc
	s_waitcnt vmcnt(0)
	buffer_gl1_inv
	buffer_gl0_inv
	v_cmp_eq_u64_e32 vcc_lo, v[8:9], v[5:6]
	s_or_b32 s6, vcc_lo, s6
	s_delay_alu instid0(SALU_CYCLE_1)
	s_and_not1_b32 exec_lo, exec_lo, s6
	s_cbranch_execnz .LBB0_90
; %bb.91:
	s_or_b32 exec_lo, exec_lo, s6
.LBB0_92:
	s_delay_alu instid0(SALU_CYCLE_1)
	s_or_b32 exec_lo, exec_lo, s5
.LBB0_93:
	s_delay_alu instid0(SALU_CYCLE_1)
	s_or_b32 exec_lo, exec_lo, s4
	s_waitcnt vmcnt(0)
	v_mov_b32_e32 v2, 0
	v_readfirstlane_b32 s4, v8
	v_readfirstlane_b32 s5, v9
	s_mov_b32 s8, exec_lo
	s_waitcnt lgkmcnt(0)
	s_clause 0x1
	global_load_b64 v[10:11], v2, s[2:3] offset:40
	global_load_b128 v[4:7], v2, s[2:3]
	s_waitcnt vmcnt(1)
	v_readfirstlane_b32 s6, v10
	v_readfirstlane_b32 s7, v11
	s_delay_alu instid0(VALU_DEP_1) | instskip(NEXT) | instid1(SALU_CYCLE_1)
	s_and_b64 s[6:7], s[4:5], s[6:7]
	s_mul_i32 s9, s7, 24
	s_mul_hi_u32 s10, s6, 24
	s_mul_i32 s11, s6, 24
	s_add_i32 s10, s10, s9
	s_waitcnt vmcnt(0)
	v_add_co_u32 v8, vcc_lo, v4, s11
	v_add_co_ci_u32_e32 v9, vcc_lo, s10, v5, vcc_lo
	s_and_saveexec_b32 s9, s0
	s_cbranch_execz .LBB0_95
; %bb.94:
	v_dual_mov_b32 v10, s8 :: v_dual_mov_b32 v11, v2
	v_dual_mov_b32 v12, 2 :: v_dual_mov_b32 v13, 1
	global_store_b128 v[8:9], v[10:13], off offset:8
.LBB0_95:
	s_or_b32 exec_lo, exec_lo, s9
	s_lshl_b64 s[6:7], s[6:7], 12
	s_mov_b32 s8, 0
	v_add_co_u32 v6, vcc_lo, v6, s6
	v_add_co_ci_u32_e32 v7, vcc_lo, s7, v7, vcc_lo
	s_mov_b32 s11, s8
	s_mov_b32 s9, s8
	;; [unrolled: 1-line block ×3, first 2 shown]
	v_and_or_b32 v0, 0xffffff1f, v0, 32
	v_dual_mov_b32 v3, v2 :: v_dual_lshlrev_b32 v14, 6, v33
	v_readfirstlane_b32 s6, v6
	v_readfirstlane_b32 s7, v7
	v_dual_mov_b32 v13, s11 :: v_dual_mov_b32 v12, s10
	v_dual_mov_b32 v11, s9 :: v_dual_mov_b32 v10, s8
	s_clause 0x3
	global_store_b128 v14, v[0:3], s[6:7]
	global_store_b128 v14, v[10:13], s[6:7] offset:16
	global_store_b128 v14, v[10:13], s[6:7] offset:32
	;; [unrolled: 1-line block ×3, first 2 shown]
	s_and_saveexec_b32 s6, s0
	s_cbranch_execz .LBB0_102
; %bb.96:
	v_mov_b32_e32 v6, 0
	s_mov_b32 s7, exec_lo
	s_clause 0x1
	global_load_b64 v[12:13], v6, s[2:3] offset:32 glc
	global_load_b64 v[0:1], v6, s[2:3] offset:40
	v_dual_mov_b32 v11, s5 :: v_dual_mov_b32 v10, s4
	s_waitcnt vmcnt(0)
	v_and_b32_e32 v1, s5, v1
	v_and_b32_e32 v0, s4, v0
	s_delay_alu instid0(VALU_DEP_2) | instskip(NEXT) | instid1(VALU_DEP_2)
	v_mul_lo_u32 v1, v1, 24
	v_mul_hi_u32 v2, v0, 24
	v_mul_lo_u32 v0, v0, 24
	s_delay_alu instid0(VALU_DEP_2) | instskip(NEXT) | instid1(VALU_DEP_2)
	v_add_nc_u32_e32 v1, v2, v1
	v_add_co_u32 v4, vcc_lo, v4, v0
	s_delay_alu instid0(VALU_DEP_2)
	v_add_co_ci_u32_e32 v5, vcc_lo, v5, v1, vcc_lo
	global_store_b64 v[4:5], v[12:13], off
	s_waitcnt_vscnt null, 0x0
	global_atomic_cmpswap_b64 v[2:3], v6, v[10:13], s[2:3] offset:32 glc
	s_waitcnt vmcnt(0)
	v_cmpx_ne_u64_e64 v[2:3], v[12:13]
	s_cbranch_execz .LBB0_98
.LBB0_97:                               ; =>This Inner Loop Header: Depth=1
	v_dual_mov_b32 v0, s4 :: v_dual_mov_b32 v1, s5
	s_sleep 1
	global_store_b64 v[4:5], v[2:3], off
	s_waitcnt_vscnt null, 0x0
	global_atomic_cmpswap_b64 v[0:1], v6, v[0:3], s[2:3] offset:32 glc
	s_waitcnt vmcnt(0)
	v_cmp_eq_u64_e32 vcc_lo, v[0:1], v[2:3]
	v_dual_mov_b32 v3, v1 :: v_dual_mov_b32 v2, v0
	s_or_b32 s8, vcc_lo, s8
	s_delay_alu instid0(SALU_CYCLE_1)
	s_and_not1_b32 exec_lo, exec_lo, s8
	s_cbranch_execnz .LBB0_97
.LBB0_98:
	s_or_b32 exec_lo, exec_lo, s7
	v_mov_b32_e32 v3, 0
	s_mov_b32 s8, exec_lo
	s_mov_b32 s7, exec_lo
	v_mbcnt_lo_u32_b32 v2, s8, 0
	global_load_b64 v[0:1], v3, s[2:3] offset:16
	v_cmpx_eq_u32_e32 0, v2
	s_cbranch_execz .LBB0_100
; %bb.99:
	s_bcnt1_i32_b32 s8, s8
	s_delay_alu instid0(SALU_CYCLE_1)
	v_mov_b32_e32 v2, s8
	s_waitcnt vmcnt(0)
	global_atomic_add_u64 v[0:1], v[2:3], off offset:8
.LBB0_100:
	s_or_b32 exec_lo, exec_lo, s7
	s_waitcnt vmcnt(0)
	global_load_b64 v[2:3], v[0:1], off offset:16
	s_waitcnt vmcnt(0)
	v_cmp_eq_u64_e32 vcc_lo, 0, v[2:3]
	s_cbranch_vccnz .LBB0_102
; %bb.101:
	global_load_b32 v0, v[0:1], off offset:24
	s_waitcnt vmcnt(0)
	v_dual_mov_b32 v1, 0 :: v_dual_and_b32 v4, 0xffffff, v0
	s_waitcnt_vscnt null, 0x0
	global_store_b64 v[2:3], v[0:1], off
	v_readfirstlane_b32 m0, v4
	s_sendmsg sendmsg(MSG_INTERRUPT)
.LBB0_102:
	s_or_b32 exec_lo, exec_lo, s6
	s_branch .LBB0_106
	.p2align	6
.LBB0_103:                              ;   in Loop: Header=BB0_106 Depth=1
	s_or_b32 exec_lo, exec_lo, s6
	s_delay_alu instid0(VALU_DEP_1) | instskip(NEXT) | instid1(VALU_DEP_1)
	v_readfirstlane_b32 s6, v0
	s_cmp_eq_u32 s6, 0
	s_cbranch_scc1 .LBB0_105
; %bb.104:                              ;   in Loop: Header=BB0_106 Depth=1
	s_sleep 1
	s_cbranch_execnz .LBB0_106
	s_branch .LBB0_109
	.p2align	6
.LBB0_105:
	s_branch .LBB0_109
.LBB0_106:                              ; =>This Inner Loop Header: Depth=1
	v_mov_b32_e32 v0, 1
	s_and_saveexec_b32 s6, s0
	s_cbranch_execz .LBB0_103
; %bb.107:                              ;   in Loop: Header=BB0_106 Depth=1
	global_load_b32 v0, v[8:9], off offset:20 glc
	s_waitcnt vmcnt(0)
	buffer_gl1_inv
	buffer_gl0_inv
	v_and_b32_e32 v0, 1, v0
	s_branch .LBB0_103
.LBB0_108:
	s_or_b32 exec_lo, exec_lo, s1
	s_waitcnt vmcnt(0) lgkmcnt(0)
	s_setpc_b64 s[30:31]
.LBB0_109:
	s_and_saveexec_b32 s6, s0
	s_cbranch_execz .LBB0_113
; %bb.110:
	v_mov_b32_e32 v6, 0
	s_clause 0x2
	global_load_b64 v[2:3], v6, s[2:3] offset:40
	global_load_b64 v[7:8], v6, s[2:3] offset:24 glc
	global_load_b64 v[4:5], v6, s[2:3]
	s_waitcnt vmcnt(2)
	v_add_co_u32 v9, vcc_lo, v2, 1
	v_add_co_ci_u32_e32 v10, vcc_lo, 0, v3, vcc_lo
	s_delay_alu instid0(VALU_DEP_2) | instskip(NEXT) | instid1(VALU_DEP_2)
	v_add_co_u32 v0, vcc_lo, v9, s4
	v_add_co_ci_u32_e32 v1, vcc_lo, s5, v10, vcc_lo
	s_delay_alu instid0(VALU_DEP_1) | instskip(SKIP_1) | instid1(VALU_DEP_1)
	v_cmp_eq_u64_e32 vcc_lo, 0, v[0:1]
	v_dual_cndmask_b32 v1, v1, v10 :: v_dual_cndmask_b32 v0, v0, v9
	v_and_b32_e32 v3, v1, v3
	s_delay_alu instid0(VALU_DEP_2) | instskip(NEXT) | instid1(VALU_DEP_2)
	v_and_b32_e32 v2, v0, v2
	v_mul_lo_u32 v3, v3, 24
	s_delay_alu instid0(VALU_DEP_2) | instskip(SKIP_1) | instid1(VALU_DEP_2)
	v_mul_hi_u32 v9, v2, 24
	v_mul_lo_u32 v2, v2, 24
	v_add_nc_u32_e32 v3, v9, v3
	s_waitcnt vmcnt(0)
	s_delay_alu instid0(VALU_DEP_2) | instskip(SKIP_1) | instid1(VALU_DEP_3)
	v_add_co_u32 v4, vcc_lo, v4, v2
	v_mov_b32_e32 v2, v7
	v_add_co_ci_u32_e32 v5, vcc_lo, v5, v3, vcc_lo
	v_mov_b32_e32 v3, v8
	global_store_b64 v[4:5], v[7:8], off
	s_waitcnt_vscnt null, 0x0
	global_atomic_cmpswap_b64 v[2:3], v6, v[0:3], s[2:3] offset:24 glc
	s_waitcnt vmcnt(0)
	v_cmp_ne_u64_e32 vcc_lo, v[2:3], v[7:8]
	s_and_b32 exec_lo, exec_lo, vcc_lo
	s_cbranch_execz .LBB0_113
; %bb.111:
	s_mov_b32 s0, 0
.LBB0_112:                              ; =>This Inner Loop Header: Depth=1
	s_sleep 1
	global_store_b64 v[4:5], v[2:3], off
	s_waitcnt_vscnt null, 0x0
	global_atomic_cmpswap_b64 v[7:8], v6, v[0:3], s[2:3] offset:24 glc
	s_waitcnt vmcnt(0)
	v_cmp_eq_u64_e32 vcc_lo, v[7:8], v[2:3]
	v_dual_mov_b32 v2, v7 :: v_dual_mov_b32 v3, v8
	s_or_b32 s0, vcc_lo, s0
	s_delay_alu instid0(SALU_CYCLE_1)
	s_and_not1_b32 exec_lo, exec_lo, s0
	s_cbranch_execnz .LBB0_112
.LBB0_113:
	s_or_b32 exec_lo, exec_lo, s6
	s_delay_alu instid0(SALU_CYCLE_1)
	s_or_b32 exec_lo, exec_lo, s1
	s_waitcnt lgkmcnt(0)
	s_setpc_b64 s[30:31]
.Lfunc_end0:
	.size	__ockl_fprintf_append_string_n, .Lfunc_end0-__ockl_fprintf_append_string_n
                                        ; -- End function
	.section	.AMDGPU.csdata,"",@progbits
; Function info:
; codeLenInByte = 4740
; NumSgprs: 34
; NumVgprs: 36
; ScratchSize: 0
; MemoryBound: 0
	.text
	.p2align	2                               ; -- Begin function __assert_fail
	.type	__assert_fail,@function
__assert_fail:                          ; @__assert_fail
; %bb.0:
	s_waitcnt vmcnt(0) expcnt(0) lgkmcnt(0)
	s_mov_b32 s20, s33
	s_mov_b32 s33, s32
	s_or_saveexec_b32 s0, -1
	scratch_store_b32 off, v40, s33 offset:48 ; 4-byte Folded Spill
	s_mov_b32 exec_lo, s0
	v_writelane_b32 v40, s30, 0
	s_add_i32 s32, s32, 64
	v_writelane_b32 v40, s31, 1
	s_getpc_b64 s[0:1]
	s_add_u32 s0, s0, __const.__assert_fail.fmt@rel32@lo+4
	s_addc_u32 s1, s1, __const.__assert_fail.fmt@rel32@hi+12
	s_getpc_b64 s[2:3]
	s_add_u32 s2, s2, __const.__assert_fail.fmt@rel32@lo+20
	s_addc_u32 s3, s3, __const.__assert_fail.fmt@rel32@hi+28
	v_mbcnt_lo_u32_b32 v48, -1, 0
	s_clause 0x1
	s_load_b128 s[4:7], s[0:1], 0x0
	s_load_b128 s[12:15], s[2:3], 0x0
	s_load_b64 s[2:3], s[8:9], 0x50
	v_dual_mov_b32 v9, v1 :: v_dual_mov_b32 v8, v0
	v_mov_b32_e32 v18, 0x73256020
	v_readfirstlane_b32 s0, v48
	v_dual_mov_b32 v0, 0 :: v_dual_mov_b32 v7, v4
	v_dual_mov_b32 v6, v3 :: v_dual_mov_b32 v3, 0
	v_mov_b32_e32 v4, 0xa2e
	v_mov_b32_e32 v19, 0x61662027
	v_dual_mov_b32 v20, 0x64656c69 :: v_dual_mov_b32 v1, 0
	v_cmp_eq_u32_e64 s0, s0, v48
	s_waitcnt lgkmcnt(0)
	v_dual_mov_b32 v13, s7 :: v_dual_mov_b32 v12, s6
	v_dual_mov_b32 v11, s5 :: v_dual_mov_b32 v10, s4
	;; [unrolled: 1-line block ×4, first 2 shown]
	s_clause 0x4
	scratch_store_b128 off, v[10:13], s33
	scratch_store_b128 off, v[14:17], s33 offset:16
	scratch_store_b8 off, v3, s33 offset:46
	scratch_store_b16 off, v4, s33 offset:44
	scratch_store_b96 off, v[18:20], s33 offset:32
	s_and_saveexec_b32 s1, s0
	s_cbranch_execz .LBB1_6
; %bb.1:
	global_load_b64 v[12:13], v3, s[2:3] offset:24 glc
	s_waitcnt vmcnt(0)
	buffer_gl1_inv
	buffer_gl0_inv
	s_clause 0x1
	global_load_b64 v[0:1], v3, s[2:3] offset:40
	global_load_b64 v[4:5], v3, s[2:3]
	s_mov_b32 s4, exec_lo
	s_waitcnt vmcnt(1)
	v_and_b32_e32 v1, v1, v13
	v_and_b32_e32 v0, v0, v12
	s_delay_alu instid0(VALU_DEP_2) | instskip(NEXT) | instid1(VALU_DEP_2)
	v_mul_lo_u32 v1, v1, 24
	v_mul_hi_u32 v10, v0, 24
	v_mul_lo_u32 v0, v0, 24
	s_delay_alu instid0(VALU_DEP_2) | instskip(SKIP_1) | instid1(VALU_DEP_2)
	v_add_nc_u32_e32 v1, v10, v1
	s_waitcnt vmcnt(0)
	v_add_co_u32 v0, vcc_lo, v4, v0
	s_delay_alu instid0(VALU_DEP_2)
	v_add_co_ci_u32_e32 v1, vcc_lo, v5, v1, vcc_lo
	global_load_b64 v[10:11], v[0:1], off glc
	s_waitcnt vmcnt(0)
	global_atomic_cmpswap_b64 v[0:1], v3, v[10:13], s[2:3] offset:24 glc
	s_waitcnt vmcnt(0)
	buffer_gl1_inv
	buffer_gl0_inv
	v_cmpx_ne_u64_e64 v[0:1], v[12:13]
	s_cbranch_execz .LBB1_5
; %bb.2:
	s_mov_b32 s5, 0
	.p2align	6
.LBB1_3:                                ; =>This Inner Loop Header: Depth=1
	s_sleep 1
	s_clause 0x1
	global_load_b64 v[4:5], v3, s[2:3] offset:40
	global_load_b64 v[10:11], v3, s[2:3]
	v_dual_mov_b32 v13, v1 :: v_dual_mov_b32 v12, v0
	s_waitcnt vmcnt(1)
	s_delay_alu instid0(VALU_DEP_1) | instskip(SKIP_1) | instid1(VALU_DEP_1)
	v_and_b32_e32 v4, v4, v12
	s_waitcnt vmcnt(0)
	v_mad_u64_u32 v[0:1], null, v4, 24, v[10:11]
	v_and_b32_e32 v10, v5, v13
	s_delay_alu instid0(VALU_DEP_1) | instskip(NEXT) | instid1(VALU_DEP_1)
	v_mad_u64_u32 v[4:5], null, v10, 24, v[1:2]
	v_mov_b32_e32 v1, v4
	global_load_b64 v[10:11], v[0:1], off glc
	s_waitcnt vmcnt(0)
	global_atomic_cmpswap_b64 v[0:1], v3, v[10:13], s[2:3] offset:24 glc
	s_waitcnt vmcnt(0)
	buffer_gl1_inv
	buffer_gl0_inv
	v_cmp_eq_u64_e32 vcc_lo, v[0:1], v[12:13]
	s_or_b32 s5, vcc_lo, s5
	s_delay_alu instid0(SALU_CYCLE_1)
	s_and_not1_b32 exec_lo, exec_lo, s5
	s_cbranch_execnz .LBB1_3
; %bb.4:
	s_or_b32 exec_lo, exec_lo, s5
.LBB1_5:
	s_delay_alu instid0(SALU_CYCLE_1)
	s_or_b32 exec_lo, exec_lo, s4
.LBB1_6:
	s_delay_alu instid0(SALU_CYCLE_1)
	s_or_b32 exec_lo, exec_lo, s1
	s_clause 0x1
	global_load_b64 v[4:5], v3, s[2:3] offset:40
	global_load_b128 v[14:17], v3, s[2:3]
	v_readfirstlane_b32 s4, v0
	v_readfirstlane_b32 s5, v1
	s_mov_b32 s1, exec_lo
	s_waitcnt vmcnt(1)
	v_readfirstlane_b32 s6, v4
	v_readfirstlane_b32 s7, v5
	s_delay_alu instid0(VALU_DEP_1) | instskip(NEXT) | instid1(SALU_CYCLE_1)
	s_and_b64 s[6:7], s[4:5], s[6:7]
	s_mul_i32 s10, s7, 24
	s_mul_hi_u32 s11, s6, 24
	s_mul_i32 s12, s6, 24
	s_add_i32 s11, s11, s10
	s_waitcnt vmcnt(0)
	v_add_co_u32 v0, vcc_lo, v14, s12
	v_add_co_ci_u32_e32 v1, vcc_lo, s11, v15, vcc_lo
	s_and_saveexec_b32 s10, s0
	s_cbranch_execz .LBB1_8
; %bb.7:
	v_dual_mov_b32 v10, s1 :: v_dual_mov_b32 v11, 0
	v_dual_mov_b32 v12, 2 :: v_dual_mov_b32 v13, 1
	global_store_b128 v[0:1], v[10:13], off offset:8
.LBB1_8:
	s_or_b32 exec_lo, exec_lo, s10
	s_lshl_b64 s[6:7], s[6:7], 12
	v_dual_mov_b32 v12, 1 :: v_dual_lshlrev_b32 v39, 6, v48
	v_add_co_u32 v3, vcc_lo, v16, s6
	v_add_co_ci_u32_e32 v4, vcc_lo, s7, v17, vcc_lo
	v_dual_mov_b32 v11, 0 :: v_dual_mov_b32 v10, 33
	s_mov_b32 s12, 0
	s_delay_alu instid0(VALU_DEP_3)
	v_readfirstlane_b32 s6, v3
	s_mov_b32 s15, s12
	v_add_co_u32 v3, vcc_lo, v3, v39
	s_mov_b32 s13, s12
	s_mov_b32 s14, s12
	v_mov_b32_e32 v13, v11
	v_readfirstlane_b32 s7, v4
	v_dual_mov_b32 v19, s15 :: v_dual_mov_b32 v16, s12
	v_add_co_ci_u32_e32 v4, vcc_lo, 0, v4, vcc_lo
	v_dual_mov_b32 v18, s14 :: v_dual_mov_b32 v17, s13
	s_clause 0x3
	global_store_b128 v39, v[10:13], s[6:7]
	global_store_b128 v39, v[16:19], s[6:7] offset:16
	global_store_b128 v39, v[16:19], s[6:7] offset:32
	;; [unrolled: 1-line block ×3, first 2 shown]
	s_and_saveexec_b32 s1, s0
	s_cbranch_execz .LBB1_16
; %bb.9:
	s_clause 0x1
	global_load_b64 v[20:21], v11, s[2:3] offset:32 glc
	global_load_b64 v[12:13], v11, s[2:3] offset:40
	s_mov_b32 s6, exec_lo
	v_dual_mov_b32 v18, s4 :: v_dual_mov_b32 v19, s5
	s_waitcnt vmcnt(0)
	v_and_b32_e32 v5, s5, v13
	v_and_b32_e32 v10, s4, v12
	s_delay_alu instid0(VALU_DEP_2) | instskip(NEXT) | instid1(VALU_DEP_2)
	v_mul_lo_u32 v5, v5, 24
	v_mul_hi_u32 v12, v10, 24
	v_mul_lo_u32 v10, v10, 24
	s_delay_alu instid0(VALU_DEP_2) | instskip(NEXT) | instid1(VALU_DEP_2)
	v_add_nc_u32_e32 v5, v12, v5
	v_add_co_u32 v16, vcc_lo, v14, v10
	s_delay_alu instid0(VALU_DEP_2)
	v_add_co_ci_u32_e32 v17, vcc_lo, v15, v5, vcc_lo
	global_store_b64 v[16:17], v[20:21], off
	s_waitcnt_vscnt null, 0x0
	global_atomic_cmpswap_b64 v[14:15], v11, v[18:21], s[2:3] offset:32 glc
	s_waitcnt vmcnt(0)
	v_cmpx_ne_u64_e64 v[14:15], v[20:21]
	s_cbranch_execz .LBB1_12
; %bb.10:
	s_mov_b32 s7, 0
.LBB1_11:                               ; =>This Inner Loop Header: Depth=1
	v_dual_mov_b32 v12, s4 :: v_dual_mov_b32 v13, s5
	s_sleep 1
	global_store_b64 v[16:17], v[14:15], off
	s_waitcnt_vscnt null, 0x0
	global_atomic_cmpswap_b64 v[12:13], v11, v[12:15], s[2:3] offset:32 glc
	s_waitcnt vmcnt(0)
	v_cmp_eq_u64_e32 vcc_lo, v[12:13], v[14:15]
	v_dual_mov_b32 v15, v13 :: v_dual_mov_b32 v14, v12
	s_or_b32 s7, vcc_lo, s7
	s_delay_alu instid0(SALU_CYCLE_1)
	s_and_not1_b32 exec_lo, exec_lo, s7
	s_cbranch_execnz .LBB1_11
.LBB1_12:
	s_or_b32 exec_lo, exec_lo, s6
	v_mov_b32_e32 v13, 0
	s_mov_b32 s7, exec_lo
	s_mov_b32 s6, exec_lo
	v_mbcnt_lo_u32_b32 v5, s7, 0
	global_load_b64 v[10:11], v13, s[2:3] offset:16
	v_cmpx_eq_u32_e32 0, v5
	s_cbranch_execz .LBB1_14
; %bb.13:
	s_bcnt1_i32_b32 s7, s7
	s_delay_alu instid0(SALU_CYCLE_1)
	v_mov_b32_e32 v12, s7
	s_waitcnt vmcnt(0)
	global_atomic_add_u64 v[10:11], v[12:13], off offset:8
.LBB1_14:
	s_or_b32 exec_lo, exec_lo, s6
	s_waitcnt vmcnt(0)
	global_load_b64 v[12:13], v[10:11], off offset:16
	s_waitcnt vmcnt(0)
	v_cmp_eq_u64_e32 vcc_lo, 0, v[12:13]
	s_cbranch_vccnz .LBB1_16
; %bb.15:
	global_load_b32 v10, v[10:11], off offset:24
	v_mov_b32_e32 v11, 0
	s_waitcnt vmcnt(0)
	v_and_b32_e32 v5, 0xffffff, v10
	s_waitcnt_vscnt null, 0x0
	global_store_b64 v[12:13], v[10:11], off
	v_readfirstlane_b32 m0, v5
	s_sendmsg sendmsg(MSG_INTERRUPT)
.LBB1_16:
	s_or_b32 exec_lo, exec_lo, s1
	s_branch .LBB1_20
	.p2align	6
.LBB1_17:                               ;   in Loop: Header=BB1_20 Depth=1
	s_or_b32 exec_lo, exec_lo, s1
	s_delay_alu instid0(VALU_DEP_1) | instskip(NEXT) | instid1(VALU_DEP_1)
	v_readfirstlane_b32 s1, v5
	s_cmp_eq_u32 s1, 0
	s_cbranch_scc1 .LBB1_19
; %bb.18:                               ;   in Loop: Header=BB1_20 Depth=1
	s_sleep 1
	s_cbranch_execnz .LBB1_20
	s_branch .LBB1_22
	.p2align	6
.LBB1_19:
	s_branch .LBB1_22
.LBB1_20:                               ; =>This Inner Loop Header: Depth=1
	v_mov_b32_e32 v5, 1
	s_and_saveexec_b32 s1, s0
	s_cbranch_execz .LBB1_17
; %bb.21:                               ;   in Loop: Header=BB1_20 Depth=1
	global_load_b32 v5, v[0:1], off offset:20 glc
	s_waitcnt vmcnt(0)
	buffer_gl1_inv
	buffer_gl0_inv
	v_and_b32_e32 v5, 1, v5
	s_branch .LBB1_17
.LBB1_22:
	global_load_b64 v[14:15], v[3:4], off
	s_and_saveexec_b32 s1, s0
	s_cbranch_execz .LBB1_26
; %bb.23:
	v_mov_b32_e32 v3, 0
	s_clause 0x2
	global_load_b64 v[0:1], v3, s[2:3] offset:40
	global_load_b64 v[4:5], v3, s[2:3] offset:24 glc
	global_load_b64 v[12:13], v3, s[2:3]
	s_waitcnt vmcnt(2)
	v_add_co_u32 v16, vcc_lo, v0, 1
	v_add_co_ci_u32_e32 v17, vcc_lo, 0, v1, vcc_lo
	s_delay_alu instid0(VALU_DEP_2) | instskip(NEXT) | instid1(VALU_DEP_2)
	v_add_co_u32 v10, vcc_lo, v16, s4
	v_add_co_ci_u32_e32 v11, vcc_lo, s5, v17, vcc_lo
	s_delay_alu instid0(VALU_DEP_1) | instskip(SKIP_1) | instid1(VALU_DEP_1)
	v_cmp_eq_u64_e32 vcc_lo, 0, v[10:11]
	v_dual_cndmask_b32 v10, v10, v16 :: v_dual_cndmask_b32 v11, v11, v17
	v_and_b32_e32 v0, v10, v0
	s_delay_alu instid0(VALU_DEP_2) | instskip(NEXT) | instid1(VALU_DEP_2)
	v_and_b32_e32 v1, v11, v1
	v_mul_hi_u32 v16, v0, 24
	v_mul_lo_u32 v0, v0, 24
	s_waitcnt vmcnt(0)
	s_delay_alu instid0(VALU_DEP_1) | instskip(SKIP_2) | instid1(VALU_DEP_1)
	v_add_co_u32 v0, vcc_lo, v12, v0
	v_mov_b32_e32 v12, v4
	v_mul_lo_u32 v1, v1, 24
	v_add_nc_u32_e32 v1, v16, v1
	s_delay_alu instid0(VALU_DEP_1)
	v_add_co_ci_u32_e32 v1, vcc_lo, v13, v1, vcc_lo
	v_mov_b32_e32 v13, v5
	global_store_b64 v[0:1], v[4:5], off
	s_waitcnt_vscnt null, 0x0
	global_atomic_cmpswap_b64 v[12:13], v3, v[10:13], s[2:3] offset:24 glc
	s_waitcnt vmcnt(0)
	v_cmp_ne_u64_e32 vcc_lo, v[12:13], v[4:5]
	s_and_b32 exec_lo, exec_lo, vcc_lo
	s_cbranch_execz .LBB1_26
; %bb.24:
	s_mov_b32 s0, 0
.LBB1_25:                               ; =>This Inner Loop Header: Depth=1
	s_sleep 1
	global_store_b64 v[0:1], v[12:13], off
	s_waitcnt_vscnt null, 0x0
	global_atomic_cmpswap_b64 v[4:5], v3, v[10:13], s[2:3] offset:24 glc
	s_waitcnt vmcnt(0)
	v_cmp_eq_u64_e32 vcc_lo, v[4:5], v[12:13]
	v_dual_mov_b32 v13, v5 :: v_dual_mov_b32 v12, v4
	s_or_b32 s0, vcc_lo, s0
	s_delay_alu instid0(SALU_CYCLE_1)
	s_and_not1_b32 exec_lo, exec_lo, s0
	s_cbranch_execnz .LBB1_25
.LBB1_26:
	s_or_b32 exec_lo, exec_lo, s1
	v_mov_b32_e32 v1, s33
	s_mov_b32 s0, 0
.LBB1_27:                               ; =>This Inner Loop Header: Depth=1
	scratch_load_u8 v3, v1, off
	v_add_nc_u32_e32 v0, 1, v1
	s_delay_alu instid0(VALU_DEP_1) | instskip(SKIP_3) | instid1(SALU_CYCLE_1)
	v_mov_b32_e32 v1, v0
	s_waitcnt vmcnt(0)
	v_cmp_eq_u16_e32 vcc_lo, 0, v3
	s_or_b32 s0, vcc_lo, s0
	s_and_not1_b32 exec_lo, exec_lo, s0
	s_cbranch_execnz .LBB1_27
; %bb.28:
	s_or_b32 exec_lo, exec_lo, s0
	v_cmp_ne_u32_e64 s0, -1, s33
	s_delay_alu instid0(VALU_DEP_1)
	s_and_b32 vcc_lo, exec_lo, s0
	s_cbranch_vccz .LBB1_113
; %bb.29:
	v_subrev_nc_u32_e32 v0, s33, v0
	v_dual_mov_b32 v38, s33 :: v_dual_and_b32 v5, 2, v14
	v_dual_mov_b32 v17, 0 :: v_dual_and_b32 v10, -3, v14
	v_dual_mov_b32 v11, v15 :: v_dual_mov_b32 v18, 2
	s_delay_alu instid0(VALU_DEP_4)
	v_ashrrev_i32_e32 v1, 31, v0
	v_mov_b32_e32 v19, 1
	s_mov_b32 s11, 0
	s_mov_b32 s10, 0
	s_branch .LBB1_31
.LBB1_30:                               ;   in Loop: Header=BB1_31 Depth=1
	s_or_b32 exec_lo, exec_lo, s1
	v_sub_co_u32 v0, vcc_lo, v0, v3
	v_sub_co_ci_u32_e32 v1, vcc_lo, v1, v4, vcc_lo
	v_add_nc_u32_e32 v38, v38, v3
	s_delay_alu instid0(VALU_DEP_2) | instskip(SKIP_1) | instid1(SALU_CYCLE_1)
	v_cmp_eq_u64_e32 vcc_lo, 0, v[0:1]
	s_or_b32 s10, vcc_lo, s10
	s_and_not1_b32 exec_lo, exec_lo, s10
	s_cbranch_execz .LBB1_114
.LBB1_31:                               ; =>This Loop Header: Depth=1
                                        ;     Child Loop BB1_34 Depth 2
                                        ;     Child Loop BB1_42 Depth 2
	;; [unrolled: 1-line block ×11, first 2 shown]
	v_cmp_gt_u64_e32 vcc_lo, 56, v[0:1]
	s_mov_b32 s4, exec_lo
                                        ; implicit-def: $vgpr12_vgpr13
                                        ; implicit-def: $sgpr1
	v_dual_cndmask_b32 v4, 0, v1 :: v_dual_cndmask_b32 v3, 56, v0
	v_cmpx_gt_u64_e32 8, v[0:1]
	s_xor_b32 s4, exec_lo, s4
	s_cbranch_execz .LBB1_37
; %bb.32:                               ;   in Loop: Header=BB1_31 Depth=1
	s_waitcnt vmcnt(0)
	v_mov_b32_e32 v12, 0
	v_mov_b32_e32 v13, 0
	s_mov_b64 s[0:1], 0
	s_mov_b32 s5, exec_lo
	v_cmpx_ne_u64_e32 0, v[0:1]
	s_cbranch_execz .LBB1_36
; %bb.33:                               ;   in Loop: Header=BB1_31 Depth=1
	v_lshlrev_b64 v[20:21], 3, v[3:4]
	v_mov_b32_e32 v12, 0
	v_dual_mov_b32 v13, 0 :: v_dual_mov_b32 v16, v38
	s_mov_b32 s6, 0
.LBB1_34:                               ;   Parent Loop BB1_31 Depth=1
                                        ; =>  This Inner Loop Header: Depth=2
	scratch_load_u8 v21, v16, off
	v_mov_b32_e32 v22, s11
	v_add_nc_u32_e32 v16, 1, v16
	s_waitcnt vmcnt(0)
	v_and_b32_e32 v21, 0xffff, v21
	s_delay_alu instid0(VALU_DEP_1) | instskip(SKIP_3) | instid1(VALU_DEP_2)
	v_lshlrev_b64 v[21:22], s0, v[21:22]
	s_add_u32 s0, s0, 8
	s_addc_u32 s1, s1, 0
	v_cmp_eq_u32_e32 vcc_lo, s0, v20
	v_or_b32_e32 v13, v22, v13
	s_delay_alu instid0(VALU_DEP_3) | instskip(SKIP_1) | instid1(SALU_CYCLE_1)
	v_or_b32_e32 v12, v21, v12
	s_or_b32 s6, vcc_lo, s6
	s_and_not1_b32 exec_lo, exec_lo, s6
	s_cbranch_execnz .LBB1_34
; %bb.35:                               ;   in Loop: Header=BB1_31 Depth=1
	s_or_b32 exec_lo, exec_lo, s6
.LBB1_36:                               ;   in Loop: Header=BB1_31 Depth=1
	s_delay_alu instid0(SALU_CYCLE_1)
	s_or_b32 exec_lo, exec_lo, s5
	s_mov_b32 s1, 0
.LBB1_37:                               ;   in Loop: Header=BB1_31 Depth=1
	s_or_saveexec_b32 s0, s4
	v_mov_b32_e32 v22, s1
	v_mov_b32_e32 v16, v38
	s_xor_b32 exec_lo, exec_lo, s0
	s_cbranch_execz .LBB1_39
; %bb.38:                               ;   in Loop: Header=BB1_31 Depth=1
	scratch_load_b64 v[12:13], v38, off
	v_add_nc_u32_e32 v22, -8, v3
	s_waitcnt vmcnt(0)
	v_and_b32_e32 v16, 0xff, v13
	v_and_b32_e32 v20, 0xff00, v13
	;; [unrolled: 1-line block ×4, first 2 shown]
	v_or3_b32 v12, v12, 0, 0
	s_delay_alu instid0(VALU_DEP_4) | instskip(NEXT) | instid1(VALU_DEP_1)
	v_or_b32_e32 v16, v16, v20
	v_or3_b32 v13, v16, v21, v13
	v_add_nc_u32_e32 v16, 8, v38
.LBB1_39:                               ;   in Loop: Header=BB1_31 Depth=1
	s_or_b32 exec_lo, exec_lo, s0
                                        ; implicit-def: $vgpr20_vgpr21
                                        ; implicit-def: $sgpr1
	s_delay_alu instid0(SALU_CYCLE_1)
	s_mov_b32 s0, exec_lo
	v_cmpx_gt_u32_e32 8, v22
	s_xor_b32 s4, exec_lo, s0
	s_cbranch_execz .LBB1_45
; %bb.40:                               ;   in Loop: Header=BB1_31 Depth=1
	v_mov_b32_e32 v20, 0
	v_mov_b32_e32 v21, 0
	s_mov_b32 s5, exec_lo
	v_cmpx_ne_u32_e32 0, v22
	s_cbranch_execz .LBB1_44
; %bb.41:                               ;   in Loop: Header=BB1_31 Depth=1
	v_mov_b32_e32 v20, 0
	v_mov_b32_e32 v21, 0
	s_mov_b64 s[0:1], 0
	s_mov_b32 s6, 0
	s_mov_b32 s7, 0
	.p2align	6
.LBB1_42:                               ;   Parent Loop BB1_31 Depth=1
                                        ; =>  This Inner Loop Header: Depth=2
	s_delay_alu instid0(SALU_CYCLE_1) | instskip(SKIP_1) | instid1(SALU_CYCLE_1)
	v_dual_mov_b32 v24, s11 :: v_dual_add_nc_u32 v23, s7, v16
	s_add_i32 s7, s7, 1
	v_cmp_eq_u32_e32 vcc_lo, s7, v22
	scratch_load_u8 v23, v23, off
	s_waitcnt vmcnt(0)
	v_and_b32_e32 v23, 0xffff, v23
	s_delay_alu instid0(VALU_DEP_1) | instskip(SKIP_3) | instid1(VALU_DEP_1)
	v_lshlrev_b64 v[23:24], s0, v[23:24]
	s_add_u32 s0, s0, 8
	s_addc_u32 s1, s1, 0
	s_or_b32 s6, vcc_lo, s6
	v_or_b32_e32 v21, v24, v21
	s_delay_alu instid0(VALU_DEP_2)
	v_or_b32_e32 v20, v23, v20
	s_and_not1_b32 exec_lo, exec_lo, s6
	s_cbranch_execnz .LBB1_42
; %bb.43:                               ;   in Loop: Header=BB1_31 Depth=1
	s_or_b32 exec_lo, exec_lo, s6
.LBB1_44:                               ;   in Loop: Header=BB1_31 Depth=1
	s_delay_alu instid0(SALU_CYCLE_1)
	s_or_b32 exec_lo, exec_lo, s5
	s_mov_b32 s1, 0
                                        ; implicit-def: $vgpr22
.LBB1_45:                               ;   in Loop: Header=BB1_31 Depth=1
	s_or_saveexec_b32 s0, s4
	v_mov_b32_e32 v24, s1
	s_xor_b32 exec_lo, exec_lo, s0
	s_cbranch_execz .LBB1_47
; %bb.46:                               ;   in Loop: Header=BB1_31 Depth=1
	scratch_load_b64 v[20:21], v16, off
	v_add_nc_u32_e32 v16, 8, v16
	s_waitcnt vmcnt(0)
	v_and_b32_e32 v23, 0xff, v21
	v_and_b32_e32 v24, 0xff00, v21
	v_and_b32_e32 v25, 0xff0000, v21
	v_and_b32_e32 v21, 0xff000000, v21
	v_or3_b32 v20, v20, 0, 0
	s_delay_alu instid0(VALU_DEP_4) | instskip(SKIP_1) | instid1(VALU_DEP_2)
	v_or_b32_e32 v23, v23, v24
	v_add_nc_u32_e32 v24, -8, v22
	v_or3_b32 v21, v23, v25, v21
.LBB1_47:                               ;   in Loop: Header=BB1_31 Depth=1
	s_or_b32 exec_lo, exec_lo, s0
                                        ; implicit-def: $sgpr1
	s_delay_alu instid0(SALU_CYCLE_1) | instskip(NEXT) | instid1(VALU_DEP_1)
	s_mov_b32 s0, exec_lo
	v_cmpx_gt_u32_e32 8, v24
	s_xor_b32 s4, exec_lo, s0
	s_cbranch_execz .LBB1_53
; %bb.48:                               ;   in Loop: Header=BB1_31 Depth=1
	v_mov_b32_e32 v22, 0
	v_mov_b32_e32 v23, 0
	s_mov_b32 s5, exec_lo
	v_cmpx_ne_u32_e32 0, v24
	s_cbranch_execz .LBB1_52
; %bb.49:                               ;   in Loop: Header=BB1_31 Depth=1
	v_mov_b32_e32 v22, 0
	v_mov_b32_e32 v23, 0
	s_mov_b64 s[0:1], 0
	s_mov_b32 s6, 0
	s_mov_b32 s7, 0
	.p2align	6
.LBB1_50:                               ;   Parent Loop BB1_31 Depth=1
                                        ; =>  This Inner Loop Header: Depth=2
	s_delay_alu instid0(SALU_CYCLE_1) | instskip(SKIP_1) | instid1(SALU_CYCLE_1)
	v_dual_mov_b32 v26, s11 :: v_dual_add_nc_u32 v25, s7, v16
	s_add_i32 s7, s7, 1
	v_cmp_eq_u32_e32 vcc_lo, s7, v24
	scratch_load_u8 v25, v25, off
	s_waitcnt vmcnt(0)
	v_and_b32_e32 v25, 0xffff, v25
	s_delay_alu instid0(VALU_DEP_1) | instskip(SKIP_3) | instid1(VALU_DEP_1)
	v_lshlrev_b64 v[25:26], s0, v[25:26]
	s_add_u32 s0, s0, 8
	s_addc_u32 s1, s1, 0
	s_or_b32 s6, vcc_lo, s6
	v_or_b32_e32 v23, v26, v23
	s_delay_alu instid0(VALU_DEP_2)
	v_or_b32_e32 v22, v25, v22
	s_and_not1_b32 exec_lo, exec_lo, s6
	s_cbranch_execnz .LBB1_50
; %bb.51:                               ;   in Loop: Header=BB1_31 Depth=1
	s_or_b32 exec_lo, exec_lo, s6
.LBB1_52:                               ;   in Loop: Header=BB1_31 Depth=1
	s_delay_alu instid0(SALU_CYCLE_1)
	s_or_b32 exec_lo, exec_lo, s5
	s_mov_b32 s1, 0
                                        ; implicit-def: $vgpr24
.LBB1_53:                               ;   in Loop: Header=BB1_31 Depth=1
	s_or_saveexec_b32 s0, s4
	v_mov_b32_e32 v26, s1
	s_xor_b32 exec_lo, exec_lo, s0
	s_cbranch_execz .LBB1_55
; %bb.54:                               ;   in Loop: Header=BB1_31 Depth=1
	scratch_load_b64 v[22:23], v16, off
	v_add_nc_u32_e32 v16, 8, v16
	s_waitcnt vmcnt(0)
	v_and_b32_e32 v25, 0xff, v23
	v_and_b32_e32 v26, 0xff00, v23
	;; [unrolled: 1-line block ×4, first 2 shown]
	v_or3_b32 v22, v22, 0, 0
	s_delay_alu instid0(VALU_DEP_4) | instskip(SKIP_1) | instid1(VALU_DEP_2)
	v_or_b32_e32 v25, v25, v26
	v_add_nc_u32_e32 v26, -8, v24
	v_or3_b32 v23, v25, v27, v23
.LBB1_55:                               ;   in Loop: Header=BB1_31 Depth=1
	s_or_b32 exec_lo, exec_lo, s0
                                        ; implicit-def: $vgpr24_vgpr25
                                        ; implicit-def: $sgpr1
	s_delay_alu instid0(SALU_CYCLE_1) | instskip(NEXT) | instid1(VALU_DEP_1)
	s_mov_b32 s0, exec_lo
	v_cmpx_gt_u32_e32 8, v26
	s_xor_b32 s4, exec_lo, s0
	s_cbranch_execz .LBB1_61
; %bb.56:                               ;   in Loop: Header=BB1_31 Depth=1
	v_mov_b32_e32 v24, 0
	v_mov_b32_e32 v25, 0
	s_mov_b32 s5, exec_lo
	v_cmpx_ne_u32_e32 0, v26
	s_cbranch_execz .LBB1_60
; %bb.57:                               ;   in Loop: Header=BB1_31 Depth=1
	v_mov_b32_e32 v24, 0
	v_mov_b32_e32 v25, 0
	s_mov_b64 s[0:1], 0
	s_mov_b32 s6, 0
	s_mov_b32 s7, 0
	.p2align	6
.LBB1_58:                               ;   Parent Loop BB1_31 Depth=1
                                        ; =>  This Inner Loop Header: Depth=2
	s_delay_alu instid0(SALU_CYCLE_1) | instskip(SKIP_1) | instid1(SALU_CYCLE_1)
	v_dual_mov_b32 v28, s11 :: v_dual_add_nc_u32 v27, s7, v16
	s_add_i32 s7, s7, 1
	v_cmp_eq_u32_e32 vcc_lo, s7, v26
	scratch_load_u8 v27, v27, off
	s_waitcnt vmcnt(0)
	v_and_b32_e32 v27, 0xffff, v27
	s_delay_alu instid0(VALU_DEP_1) | instskip(SKIP_3) | instid1(VALU_DEP_1)
	v_lshlrev_b64 v[27:28], s0, v[27:28]
	s_add_u32 s0, s0, 8
	s_addc_u32 s1, s1, 0
	s_or_b32 s6, vcc_lo, s6
	v_or_b32_e32 v25, v28, v25
	s_delay_alu instid0(VALU_DEP_2)
	v_or_b32_e32 v24, v27, v24
	s_and_not1_b32 exec_lo, exec_lo, s6
	s_cbranch_execnz .LBB1_58
; %bb.59:                               ;   in Loop: Header=BB1_31 Depth=1
	s_or_b32 exec_lo, exec_lo, s6
.LBB1_60:                               ;   in Loop: Header=BB1_31 Depth=1
	s_delay_alu instid0(SALU_CYCLE_1)
	s_or_b32 exec_lo, exec_lo, s5
	s_mov_b32 s1, 0
                                        ; implicit-def: $vgpr26
.LBB1_61:                               ;   in Loop: Header=BB1_31 Depth=1
	s_or_saveexec_b32 s0, s4
	v_mov_b32_e32 v28, s1
	s_xor_b32 exec_lo, exec_lo, s0
	s_cbranch_execz .LBB1_63
; %bb.62:                               ;   in Loop: Header=BB1_31 Depth=1
	scratch_load_b64 v[24:25], v16, off
	v_add_nc_u32_e32 v16, 8, v16
	s_waitcnt vmcnt(0)
	v_and_b32_e32 v27, 0xff, v25
	v_and_b32_e32 v28, 0xff00, v25
	;; [unrolled: 1-line block ×4, first 2 shown]
	v_or3_b32 v24, v24, 0, 0
	s_delay_alu instid0(VALU_DEP_4) | instskip(SKIP_1) | instid1(VALU_DEP_2)
	v_or_b32_e32 v27, v27, v28
	v_add_nc_u32_e32 v28, -8, v26
	v_or3_b32 v25, v27, v29, v25
.LBB1_63:                               ;   in Loop: Header=BB1_31 Depth=1
	s_or_b32 exec_lo, exec_lo, s0
                                        ; implicit-def: $sgpr1
	s_delay_alu instid0(SALU_CYCLE_1) | instskip(NEXT) | instid1(VALU_DEP_1)
	s_mov_b32 s0, exec_lo
	v_cmpx_gt_u32_e32 8, v28
	s_xor_b32 s4, exec_lo, s0
	s_cbranch_execz .LBB1_69
; %bb.64:                               ;   in Loop: Header=BB1_31 Depth=1
	v_mov_b32_e32 v26, 0
	v_mov_b32_e32 v27, 0
	s_mov_b32 s5, exec_lo
	v_cmpx_ne_u32_e32 0, v28
	s_cbranch_execz .LBB1_68
; %bb.65:                               ;   in Loop: Header=BB1_31 Depth=1
	v_mov_b32_e32 v26, 0
	v_mov_b32_e32 v27, 0
	s_mov_b64 s[0:1], 0
	s_mov_b32 s6, 0
	s_mov_b32 s7, 0
	.p2align	6
.LBB1_66:                               ;   Parent Loop BB1_31 Depth=1
                                        ; =>  This Inner Loop Header: Depth=2
	s_delay_alu instid0(SALU_CYCLE_1) | instskip(SKIP_1) | instid1(SALU_CYCLE_1)
	v_dual_mov_b32 v30, s11 :: v_dual_add_nc_u32 v29, s7, v16
	s_add_i32 s7, s7, 1
	v_cmp_eq_u32_e32 vcc_lo, s7, v28
	scratch_load_u8 v29, v29, off
	s_waitcnt vmcnt(0)
	v_and_b32_e32 v29, 0xffff, v29
	s_delay_alu instid0(VALU_DEP_1) | instskip(SKIP_3) | instid1(VALU_DEP_1)
	v_lshlrev_b64 v[29:30], s0, v[29:30]
	s_add_u32 s0, s0, 8
	s_addc_u32 s1, s1, 0
	s_or_b32 s6, vcc_lo, s6
	v_or_b32_e32 v27, v30, v27
	s_delay_alu instid0(VALU_DEP_2)
	v_or_b32_e32 v26, v29, v26
	s_and_not1_b32 exec_lo, exec_lo, s6
	s_cbranch_execnz .LBB1_66
; %bb.67:                               ;   in Loop: Header=BB1_31 Depth=1
	s_or_b32 exec_lo, exec_lo, s6
.LBB1_68:                               ;   in Loop: Header=BB1_31 Depth=1
	s_delay_alu instid0(SALU_CYCLE_1)
	s_or_b32 exec_lo, exec_lo, s5
	s_mov_b32 s1, 0
                                        ; implicit-def: $vgpr28
.LBB1_69:                               ;   in Loop: Header=BB1_31 Depth=1
	s_or_saveexec_b32 s0, s4
	v_mov_b32_e32 v30, s1
	s_xor_b32 exec_lo, exec_lo, s0
	s_cbranch_execz .LBB1_71
; %bb.70:                               ;   in Loop: Header=BB1_31 Depth=1
	scratch_load_b64 v[26:27], v16, off
	v_add_nc_u32_e32 v16, 8, v16
	s_waitcnt vmcnt(0)
	v_and_b32_e32 v29, 0xff, v27
	v_and_b32_e32 v30, 0xff00, v27
	;; [unrolled: 1-line block ×4, first 2 shown]
	v_or3_b32 v26, v26, 0, 0
	s_delay_alu instid0(VALU_DEP_4) | instskip(SKIP_1) | instid1(VALU_DEP_2)
	v_or_b32_e32 v29, v29, v30
	v_add_nc_u32_e32 v30, -8, v28
	v_or3_b32 v27, v29, v31, v27
.LBB1_71:                               ;   in Loop: Header=BB1_31 Depth=1
	s_or_b32 exec_lo, exec_lo, s0
                                        ; implicit-def: $vgpr28_vgpr29
                                        ; implicit-def: $sgpr1
	s_delay_alu instid0(SALU_CYCLE_1) | instskip(NEXT) | instid1(VALU_DEP_1)
	s_mov_b32 s0, exec_lo
	v_cmpx_gt_u32_e32 8, v30
	s_xor_b32 s4, exec_lo, s0
	s_cbranch_execz .LBB1_77
; %bb.72:                               ;   in Loop: Header=BB1_31 Depth=1
	v_mov_b32_e32 v28, 0
	v_mov_b32_e32 v29, 0
	s_mov_b32 s5, exec_lo
	v_cmpx_ne_u32_e32 0, v30
	s_cbranch_execz .LBB1_76
; %bb.73:                               ;   in Loop: Header=BB1_31 Depth=1
	v_mov_b32_e32 v28, 0
	v_mov_b32_e32 v29, 0
	s_mov_b64 s[0:1], 0
	s_mov_b32 s6, 0
	s_mov_b32 s7, 0
	.p2align	6
.LBB1_74:                               ;   Parent Loop BB1_31 Depth=1
                                        ; =>  This Inner Loop Header: Depth=2
	s_delay_alu instid0(SALU_CYCLE_1) | instskip(SKIP_1) | instid1(SALU_CYCLE_1)
	v_dual_mov_b32 v32, s11 :: v_dual_add_nc_u32 v31, s7, v16
	s_add_i32 s7, s7, 1
	v_cmp_eq_u32_e32 vcc_lo, s7, v30
	scratch_load_u8 v31, v31, off
	s_waitcnt vmcnt(0)
	v_and_b32_e32 v31, 0xffff, v31
	s_delay_alu instid0(VALU_DEP_1) | instskip(SKIP_3) | instid1(VALU_DEP_1)
	v_lshlrev_b64 v[31:32], s0, v[31:32]
	s_add_u32 s0, s0, 8
	s_addc_u32 s1, s1, 0
	s_or_b32 s6, vcc_lo, s6
	v_or_b32_e32 v29, v32, v29
	s_delay_alu instid0(VALU_DEP_2)
	v_or_b32_e32 v28, v31, v28
	s_and_not1_b32 exec_lo, exec_lo, s6
	s_cbranch_execnz .LBB1_74
; %bb.75:                               ;   in Loop: Header=BB1_31 Depth=1
	s_or_b32 exec_lo, exec_lo, s6
.LBB1_76:                               ;   in Loop: Header=BB1_31 Depth=1
	s_delay_alu instid0(SALU_CYCLE_1)
	s_or_b32 exec_lo, exec_lo, s5
	s_mov_b32 s1, 0
                                        ; implicit-def: $vgpr30
.LBB1_77:                               ;   in Loop: Header=BB1_31 Depth=1
	s_or_saveexec_b32 s0, s4
	v_mov_b32_e32 v32, s1
	s_xor_b32 exec_lo, exec_lo, s0
	s_cbranch_execz .LBB1_79
; %bb.78:                               ;   in Loop: Header=BB1_31 Depth=1
	scratch_load_b64 v[28:29], v16, off
	v_add_nc_u32_e32 v16, 8, v16
	s_waitcnt vmcnt(0)
	v_and_b32_e32 v31, 0xff, v29
	v_and_b32_e32 v32, 0xff00, v29
	v_and_b32_e32 v33, 0xff0000, v29
	v_and_b32_e32 v29, 0xff000000, v29
	v_or3_b32 v28, v28, 0, 0
	s_delay_alu instid0(VALU_DEP_4) | instskip(SKIP_1) | instid1(VALU_DEP_2)
	v_or_b32_e32 v31, v31, v32
	v_add_nc_u32_e32 v32, -8, v30
	v_or3_b32 v29, v31, v33, v29
.LBB1_79:                               ;   in Loop: Header=BB1_31 Depth=1
	s_or_b32 exec_lo, exec_lo, s0
	s_delay_alu instid0(SALU_CYCLE_1) | instskip(NEXT) | instid1(VALU_DEP_1)
	s_mov_b32 s0, exec_lo
	v_cmpx_gt_u32_e32 8, v32
	s_xor_b32 s4, exec_lo, s0
	s_cbranch_execz .LBB1_85
; %bb.80:                               ;   in Loop: Header=BB1_31 Depth=1
	v_mov_b32_e32 v30, 0
	v_mov_b32_e32 v31, 0
	s_mov_b32 s5, exec_lo
	v_cmpx_ne_u32_e32 0, v32
	s_cbranch_execz .LBB1_84
; %bb.81:                               ;   in Loop: Header=BB1_31 Depth=1
	v_mov_b32_e32 v30, 0
	v_mov_b32_e32 v31, 0
	s_mov_b64 s[0:1], 0
	s_mov_b32 s6, 0
	.p2align	6
.LBB1_82:                               ;   Parent Loop BB1_31 Depth=1
                                        ; =>  This Inner Loop Header: Depth=2
	scratch_load_u8 v33, v16, off
	v_mov_b32_e32 v34, s11
	v_add_nc_u32_e32 v32, -1, v32
	v_add_nc_u32_e32 v16, 1, v16
	s_delay_alu instid0(VALU_DEP_2) | instskip(SKIP_2) | instid1(VALU_DEP_1)
	v_cmp_eq_u32_e32 vcc_lo, 0, v32
	s_waitcnt vmcnt(0)
	v_and_b32_e32 v33, 0xffff, v33
	v_lshlrev_b64 v[33:34], s0, v[33:34]
	s_add_u32 s0, s0, 8
	s_addc_u32 s1, s1, 0
	s_or_b32 s6, vcc_lo, s6
	s_delay_alu instid0(VALU_DEP_1) | instskip(NEXT) | instid1(VALU_DEP_2)
	v_or_b32_e32 v31, v34, v31
	v_or_b32_e32 v30, v33, v30
	s_and_not1_b32 exec_lo, exec_lo, s6
	s_cbranch_execnz .LBB1_82
; %bb.83:                               ;   in Loop: Header=BB1_31 Depth=1
	s_or_b32 exec_lo, exec_lo, s6
.LBB1_84:                               ;   in Loop: Header=BB1_31 Depth=1
	s_delay_alu instid0(SALU_CYCLE_1)
	s_or_b32 exec_lo, exec_lo, s5
                                        ; implicit-def: $vgpr16
.LBB1_85:                               ;   in Loop: Header=BB1_31 Depth=1
	s_and_not1_saveexec_b32 s0, s4
	s_cbranch_execz .LBB1_87
; %bb.86:                               ;   in Loop: Header=BB1_31 Depth=1
	scratch_load_b64 v[30:31], v16, off
	s_waitcnt vmcnt(0)
	v_and_b32_e32 v16, 0xff, v31
	v_and_b32_e32 v32, 0xff00, v31
	;; [unrolled: 1-line block ×4, first 2 shown]
	v_or3_b32 v30, v30, 0, 0
	s_delay_alu instid0(VALU_DEP_4) | instskip(NEXT) | instid1(VALU_DEP_1)
	v_or_b32_e32 v16, v16, v32
	v_or3_b32 v31, v16, v33, v31
.LBB1_87:                               ;   in Loop: Header=BB1_31 Depth=1
	s_or_b32 exec_lo, exec_lo, s0
	v_readfirstlane_b32 s0, v48
	v_mov_b32_e32 v36, 0
	v_mov_b32_e32 v37, 0
	s_delay_alu instid0(VALU_DEP_3) | instskip(NEXT) | instid1(VALU_DEP_1)
	v_cmp_eq_u32_e64 s0, s0, v48
	s_and_saveexec_b32 s1, s0
	s_cbranch_execz .LBB1_93
; %bb.88:                               ;   in Loop: Header=BB1_31 Depth=1
	global_load_b64 v[34:35], v17, s[2:3] offset:24 glc
	s_waitcnt vmcnt(0)
	buffer_gl1_inv
	buffer_gl0_inv
	s_clause 0x1
	global_load_b64 v[32:33], v17, s[2:3] offset:40
	global_load_b64 v[36:37], v17, s[2:3]
	s_mov_b32 s4, exec_lo
	s_waitcnt vmcnt(1)
	v_and_b32_e32 v16, v33, v35
	v_and_b32_e32 v32, v32, v34
	s_delay_alu instid0(VALU_DEP_2) | instskip(NEXT) | instid1(VALU_DEP_2)
	v_mul_lo_u32 v16, v16, 24
	v_mul_hi_u32 v33, v32, 24
	v_mul_lo_u32 v32, v32, 24
	s_delay_alu instid0(VALU_DEP_2) | instskip(SKIP_1) | instid1(VALU_DEP_2)
	v_add_nc_u32_e32 v16, v33, v16
	s_waitcnt vmcnt(0)
	v_add_co_u32 v32, vcc_lo, v36, v32
	s_delay_alu instid0(VALU_DEP_2)
	v_add_co_ci_u32_e32 v33, vcc_lo, v37, v16, vcc_lo
	global_load_b64 v[32:33], v[32:33], off glc
	s_waitcnt vmcnt(0)
	global_atomic_cmpswap_b64 v[36:37], v17, v[32:35], s[2:3] offset:24 glc
	s_waitcnt vmcnt(0)
	buffer_gl1_inv
	buffer_gl0_inv
	v_cmpx_ne_u64_e64 v[36:37], v[34:35]
	s_cbranch_execz .LBB1_92
; %bb.89:                               ;   in Loop: Header=BB1_31 Depth=1
	s_mov_b32 s5, 0
	.p2align	6
.LBB1_90:                               ;   Parent Loop BB1_31 Depth=1
                                        ; =>  This Inner Loop Header: Depth=2
	s_sleep 1
	s_clause 0x1
	global_load_b64 v[32:33], v17, s[2:3] offset:40
	global_load_b64 v[49:50], v17, s[2:3]
	v_dual_mov_b32 v34, v36 :: v_dual_mov_b32 v35, v37
	s_waitcnt vmcnt(1)
	s_delay_alu instid0(VALU_DEP_1) | instskip(SKIP_1) | instid1(VALU_DEP_1)
	v_and_b32_e32 v16, v32, v34
	s_waitcnt vmcnt(0)
	v_mad_u64_u32 v[36:37], null, v16, 24, v[49:50]
	v_and_b32_e32 v49, v33, v35
	s_delay_alu instid0(VALU_DEP_2) | instskip(NEXT) | instid1(VALU_DEP_1)
	v_mov_b32_e32 v16, v37
	v_mad_u64_u32 v[32:33], null, v49, 24, v[16:17]
	s_delay_alu instid0(VALU_DEP_1)
	v_mov_b32_e32 v37, v32
	global_load_b64 v[32:33], v[36:37], off glc
	s_waitcnt vmcnt(0)
	global_atomic_cmpswap_b64 v[36:37], v17, v[32:35], s[2:3] offset:24 glc
	s_waitcnt vmcnt(0)
	buffer_gl1_inv
	buffer_gl0_inv
	v_cmp_eq_u64_e32 vcc_lo, v[36:37], v[34:35]
	s_or_b32 s5, vcc_lo, s5
	s_delay_alu instid0(SALU_CYCLE_1)
	s_and_not1_b32 exec_lo, exec_lo, s5
	s_cbranch_execnz .LBB1_90
; %bb.91:                               ;   in Loop: Header=BB1_31 Depth=1
	s_or_b32 exec_lo, exec_lo, s5
.LBB1_92:                               ;   in Loop: Header=BB1_31 Depth=1
	s_delay_alu instid0(SALU_CYCLE_1)
	s_or_b32 exec_lo, exec_lo, s4
.LBB1_93:                               ;   in Loop: Header=BB1_31 Depth=1
	s_delay_alu instid0(SALU_CYCLE_1)
	s_or_b32 exec_lo, exec_lo, s1
	s_clause 0x1
	global_load_b64 v[49:50], v17, s[2:3] offset:40
	global_load_b128 v[32:35], v17, s[2:3]
	v_readfirstlane_b32 s4, v36
	v_readfirstlane_b32 s5, v37
	s_mov_b32 s1, exec_lo
	s_waitcnt vmcnt(1)
	v_readfirstlane_b32 s6, v49
	v_readfirstlane_b32 s7, v50
	s_delay_alu instid0(VALU_DEP_1) | instskip(NEXT) | instid1(SALU_CYCLE_1)
	s_and_b64 s[6:7], s[4:5], s[6:7]
	s_mul_i32 s12, s7, 24
	s_mul_hi_u32 s13, s6, 24
	s_mul_i32 s14, s6, 24
	s_add_i32 s13, s13, s12
	s_waitcnt vmcnt(0)
	v_add_co_u32 v36, vcc_lo, v32, s14
	v_add_co_ci_u32_e32 v37, vcc_lo, s13, v33, vcc_lo
	s_and_saveexec_b32 s12, s0
	s_cbranch_execz .LBB1_95
; %bb.94:                               ;   in Loop: Header=BB1_31 Depth=1
	v_mov_b32_e32 v16, s1
	global_store_b128 v[36:37], v[16:19], off offset:8
.LBB1_95:                               ;   in Loop: Header=BB1_31 Depth=1
	s_or_b32 exec_lo, exec_lo, s12
	v_cmp_lt_u64_e32 vcc_lo, 56, v[0:1]
	v_or_b32_e32 v16, 0, v11
	v_or_b32_e32 v49, v10, v5
	v_lshl_add_u32 v50, v3, 2, 28
	s_lshl_b64 s[6:7], s[6:7], 12
	s_delay_alu instid0(SALU_CYCLE_1) | instskip(NEXT) | instid1(VALU_DEP_1)
	v_add_co_u32 v34, s1, v34, s6
	v_add_co_ci_u32_e64 v35, s1, s7, v35, s1
	v_dual_cndmask_b32 v11, v16, v11 :: v_dual_cndmask_b32 v10, v49, v10
	v_and_b32_e32 v16, 0x1e0, v50
	s_delay_alu instid0(VALU_DEP_4) | instskip(NEXT) | instid1(VALU_DEP_4)
	v_readfirstlane_b32 s6, v34
	v_readfirstlane_b32 s7, v35
	s_delay_alu instid0(VALU_DEP_3)
	v_and_or_b32 v10, 0xffffff1f, v10, v16
	s_clause 0x3
	global_store_b128 v39, v[10:13], s[6:7]
	global_store_b128 v39, v[20:23], s[6:7] offset:16
	global_store_b128 v39, v[24:27], s[6:7] offset:32
	;; [unrolled: 1-line block ×3, first 2 shown]
	s_and_saveexec_b32 s1, s0
	s_cbranch_execz .LBB1_103
; %bb.96:                               ;   in Loop: Header=BB1_31 Depth=1
	s_clause 0x1
	global_load_b64 v[24:25], v17, s[2:3] offset:32 glc
	global_load_b64 v[10:11], v17, s[2:3] offset:40
	v_dual_mov_b32 v22, s4 :: v_dual_mov_b32 v23, s5
	s_waitcnt vmcnt(0)
	v_readfirstlane_b32 s6, v10
	v_readfirstlane_b32 s7, v11
	s_delay_alu instid0(VALU_DEP_1) | instskip(NEXT) | instid1(SALU_CYCLE_1)
	s_and_b64 s[6:7], s[6:7], s[4:5]
	s_mul_i32 s7, s7, 24
	s_mul_hi_u32 s12, s6, 24
	s_mul_i32 s6, s6, 24
	s_add_i32 s12, s12, s7
	v_add_co_u32 v20, vcc_lo, v32, s6
	v_add_co_ci_u32_e32 v21, vcc_lo, s12, v33, vcc_lo
	s_mov_b32 s6, exec_lo
	global_store_b64 v[20:21], v[24:25], off
	s_waitcnt_vscnt null, 0x0
	global_atomic_cmpswap_b64 v[12:13], v17, v[22:25], s[2:3] offset:32 glc
	s_waitcnt vmcnt(0)
	v_cmpx_ne_u64_e64 v[12:13], v[24:25]
	s_cbranch_execz .LBB1_99
; %bb.97:                               ;   in Loop: Header=BB1_31 Depth=1
	s_mov_b32 s7, 0
.LBB1_98:                               ;   Parent Loop BB1_31 Depth=1
                                        ; =>  This Inner Loop Header: Depth=2
	v_dual_mov_b32 v10, s4 :: v_dual_mov_b32 v11, s5
	s_sleep 1
	global_store_b64 v[20:21], v[12:13], off
	s_waitcnt_vscnt null, 0x0
	global_atomic_cmpswap_b64 v[10:11], v17, v[10:13], s[2:3] offset:32 glc
	s_waitcnt vmcnt(0)
	v_cmp_eq_u64_e32 vcc_lo, v[10:11], v[12:13]
	v_dual_mov_b32 v13, v11 :: v_dual_mov_b32 v12, v10
	s_or_b32 s7, vcc_lo, s7
	s_delay_alu instid0(SALU_CYCLE_1)
	s_and_not1_b32 exec_lo, exec_lo, s7
	s_cbranch_execnz .LBB1_98
.LBB1_99:                               ;   in Loop: Header=BB1_31 Depth=1
	s_or_b32 exec_lo, exec_lo, s6
	global_load_b64 v[10:11], v17, s[2:3] offset:16
	s_mov_b32 s7, exec_lo
	s_mov_b32 s6, exec_lo
	v_mbcnt_lo_u32_b32 v12, s7, 0
	s_delay_alu instid0(VALU_DEP_1)
	v_cmpx_eq_u32_e32 0, v12
	s_cbranch_execz .LBB1_101
; %bb.100:                              ;   in Loop: Header=BB1_31 Depth=1
	s_bcnt1_i32_b32 s7, s7
	s_delay_alu instid0(SALU_CYCLE_1)
	v_mov_b32_e32 v16, s7
	s_waitcnt vmcnt(0)
	global_atomic_add_u64 v[10:11], v[16:17], off offset:8
.LBB1_101:                              ;   in Loop: Header=BB1_31 Depth=1
	s_or_b32 exec_lo, exec_lo, s6
	s_waitcnt vmcnt(0)
	global_load_b64 v[12:13], v[10:11], off offset:16
	s_waitcnt vmcnt(0)
	v_cmp_eq_u64_e32 vcc_lo, 0, v[12:13]
	s_cbranch_vccnz .LBB1_103
; %bb.102:                              ;   in Loop: Header=BB1_31 Depth=1
	global_load_b32 v16, v[10:11], off offset:24
	s_waitcnt vmcnt(0)
	v_and_b32_e32 v10, 0xffffff, v16
	s_waitcnt_vscnt null, 0x0
	global_store_b64 v[12:13], v[16:17], off
	v_readfirstlane_b32 m0, v10
	s_sendmsg sendmsg(MSG_INTERRUPT)
.LBB1_103:                              ;   in Loop: Header=BB1_31 Depth=1
	s_or_b32 exec_lo, exec_lo, s1
	v_add_co_u32 v10, vcc_lo, v34, v39
	v_add_co_ci_u32_e32 v11, vcc_lo, 0, v35, vcc_lo
	s_branch .LBB1_107
	.p2align	6
.LBB1_104:                              ;   in Loop: Header=BB1_107 Depth=2
	s_or_b32 exec_lo, exec_lo, s1
	s_delay_alu instid0(VALU_DEP_1) | instskip(NEXT) | instid1(VALU_DEP_1)
	v_readfirstlane_b32 s1, v12
	s_cmp_eq_u32 s1, 0
	s_cbranch_scc1 .LBB1_106
; %bb.105:                              ;   in Loop: Header=BB1_107 Depth=2
	s_sleep 1
	s_cbranch_execnz .LBB1_107
	s_branch .LBB1_109
	.p2align	6
.LBB1_106:                              ;   in Loop: Header=BB1_31 Depth=1
	s_branch .LBB1_109
.LBB1_107:                              ;   Parent Loop BB1_31 Depth=1
                                        ; =>  This Inner Loop Header: Depth=2
	v_mov_b32_e32 v12, 1
	s_and_saveexec_b32 s1, s0
	s_cbranch_execz .LBB1_104
; %bb.108:                              ;   in Loop: Header=BB1_107 Depth=2
	global_load_b32 v12, v[36:37], off offset:20 glc
	s_waitcnt vmcnt(0)
	buffer_gl1_inv
	buffer_gl0_inv
	v_and_b32_e32 v12, 1, v12
	s_branch .LBB1_104
.LBB1_109:                              ;   in Loop: Header=BB1_31 Depth=1
	global_load_b128 v[10:13], v[10:11], off
	s_and_saveexec_b32 s1, s0
	s_cbranch_execz .LBB1_30
; %bb.110:                              ;   in Loop: Header=BB1_31 Depth=1
	s_clause 0x2
	global_load_b64 v[12:13], v17, s[2:3] offset:40
	global_load_b64 v[24:25], v17, s[2:3] offset:24 glc
	global_load_b64 v[22:23], v17, s[2:3]
	s_waitcnt vmcnt(2)
	v_add_co_u32 v16, vcc_lo, v12, 1
	v_add_co_ci_u32_e32 v26, vcc_lo, 0, v13, vcc_lo
	s_delay_alu instid0(VALU_DEP_2) | instskip(NEXT) | instid1(VALU_DEP_2)
	v_add_co_u32 v20, vcc_lo, v16, s4
	v_add_co_ci_u32_e32 v21, vcc_lo, s5, v26, vcc_lo
	s_delay_alu instid0(VALU_DEP_1) | instskip(SKIP_1) | instid1(VALU_DEP_1)
	v_cmp_eq_u64_e32 vcc_lo, 0, v[20:21]
	v_dual_cndmask_b32 v21, v21, v26 :: v_dual_cndmask_b32 v20, v20, v16
	v_and_b32_e32 v13, v21, v13
	s_delay_alu instid0(VALU_DEP_2) | instskip(NEXT) | instid1(VALU_DEP_1)
	v_and_b32_e32 v12, v20, v12
	v_mul_hi_u32 v16, v12, 24
	v_mul_lo_u32 v12, v12, 24
	s_waitcnt vmcnt(0)
	s_delay_alu instid0(VALU_DEP_1) | instskip(SKIP_2) | instid1(VALU_DEP_1)
	v_add_co_u32 v12, vcc_lo, v22, v12
	v_mov_b32_e32 v22, v24
	v_mul_lo_u32 v13, v13, 24
	v_add_nc_u32_e32 v13, v16, v13
	s_delay_alu instid0(VALU_DEP_1)
	v_add_co_ci_u32_e32 v13, vcc_lo, v23, v13, vcc_lo
	v_mov_b32_e32 v23, v25
	global_store_b64 v[12:13], v[24:25], off
	s_waitcnt_vscnt null, 0x0
	global_atomic_cmpswap_b64 v[22:23], v17, v[20:23], s[2:3] offset:24 glc
	s_waitcnt vmcnt(0)
	v_cmp_ne_u64_e32 vcc_lo, v[22:23], v[24:25]
	s_and_b32 exec_lo, exec_lo, vcc_lo
	s_cbranch_execz .LBB1_30
; %bb.111:                              ;   in Loop: Header=BB1_31 Depth=1
	s_mov_b32 s0, 0
.LBB1_112:                              ;   Parent Loop BB1_31 Depth=1
                                        ; =>  This Inner Loop Header: Depth=2
	s_sleep 1
	global_store_b64 v[12:13], v[22:23], off
	s_waitcnt_vscnt null, 0x0
	global_atomic_cmpswap_b64 v[24:25], v17, v[20:23], s[2:3] offset:24 glc
	s_waitcnt vmcnt(0)
	v_cmp_eq_u64_e32 vcc_lo, v[24:25], v[22:23]
	v_dual_mov_b32 v22, v24 :: v_dual_mov_b32 v23, v25
	s_or_b32 s0, vcc_lo, s0
	s_delay_alu instid0(SALU_CYCLE_1)
	s_and_not1_b32 exec_lo, exec_lo, s0
	s_cbranch_execnz .LBB1_112
	s_branch .LBB1_30
.LBB1_113:
                                        ; implicit-def: $vgpr10_vgpr11
	s_cbranch_execnz .LBB1_115
	s_branch .LBB1_142
.LBB1_114:
	s_or_b32 exec_lo, exec_lo, s10
	s_branch .LBB1_142
.LBB1_115:
	v_readfirstlane_b32 s0, v48
	v_mov_b32_e32 v0, 0
	v_mov_b32_e32 v1, 0
	s_delay_alu instid0(VALU_DEP_3) | instskip(NEXT) | instid1(VALU_DEP_1)
	v_cmp_eq_u32_e64 s0, s0, v48
	s_and_saveexec_b32 s1, s0
	s_cbranch_execz .LBB1_121
; %bb.116:
	v_mov_b32_e32 v3, 0
	s_mov_b32 s4, exec_lo
	global_load_b64 v[12:13], v3, s[2:3] offset:24 glc
	s_waitcnt vmcnt(0)
	buffer_gl1_inv
	buffer_gl0_inv
	s_clause 0x1
	global_load_b64 v[0:1], v3, s[2:3] offset:40
	global_load_b64 v[4:5], v3, s[2:3]
	s_waitcnt vmcnt(1)
	v_and_b32_e32 v0, v0, v12
	v_and_b32_e32 v1, v1, v13
	s_delay_alu instid0(VALU_DEP_2) | instskip(NEXT) | instid1(VALU_DEP_2)
	v_mul_hi_u32 v10, v0, 24
	v_mul_lo_u32 v1, v1, 24
	v_mul_lo_u32 v0, v0, 24
	s_delay_alu instid0(VALU_DEP_2) | instskip(SKIP_1) | instid1(VALU_DEP_2)
	v_add_nc_u32_e32 v1, v10, v1
	s_waitcnt vmcnt(0)
	v_add_co_u32 v0, vcc_lo, v4, v0
	s_delay_alu instid0(VALU_DEP_2)
	v_add_co_ci_u32_e32 v1, vcc_lo, v5, v1, vcc_lo
	global_load_b64 v[10:11], v[0:1], off glc
	s_waitcnt vmcnt(0)
	global_atomic_cmpswap_b64 v[0:1], v3, v[10:13], s[2:3] offset:24 glc
	s_waitcnt vmcnt(0)
	buffer_gl1_inv
	buffer_gl0_inv
	v_cmpx_ne_u64_e64 v[0:1], v[12:13]
	s_cbranch_execz .LBB1_120
; %bb.117:
	s_mov_b32 s5, 0
	.p2align	6
.LBB1_118:                              ; =>This Inner Loop Header: Depth=1
	s_sleep 1
	s_clause 0x1
	global_load_b64 v[4:5], v3, s[2:3] offset:40
	global_load_b64 v[10:11], v3, s[2:3]
	v_dual_mov_b32 v13, v1 :: v_dual_mov_b32 v12, v0
	s_waitcnt vmcnt(1)
	s_delay_alu instid0(VALU_DEP_1) | instskip(SKIP_1) | instid1(VALU_DEP_1)
	v_and_b32_e32 v4, v4, v12
	s_waitcnt vmcnt(0)
	v_mad_u64_u32 v[0:1], null, v4, 24, v[10:11]
	v_and_b32_e32 v10, v5, v13
	s_delay_alu instid0(VALU_DEP_1) | instskip(NEXT) | instid1(VALU_DEP_1)
	v_mad_u64_u32 v[4:5], null, v10, 24, v[1:2]
	v_mov_b32_e32 v1, v4
	global_load_b64 v[10:11], v[0:1], off glc
	s_waitcnt vmcnt(0)
	global_atomic_cmpswap_b64 v[0:1], v3, v[10:13], s[2:3] offset:24 glc
	s_waitcnt vmcnt(0)
	buffer_gl1_inv
	buffer_gl0_inv
	v_cmp_eq_u64_e32 vcc_lo, v[0:1], v[12:13]
	s_or_b32 s5, vcc_lo, s5
	s_delay_alu instid0(SALU_CYCLE_1)
	s_and_not1_b32 exec_lo, exec_lo, s5
	s_cbranch_execnz .LBB1_118
; %bb.119:
	s_or_b32 exec_lo, exec_lo, s5
.LBB1_120:
	s_delay_alu instid0(SALU_CYCLE_1)
	s_or_b32 exec_lo, exec_lo, s4
.LBB1_121:
	s_delay_alu instid0(SALU_CYCLE_1)
	s_or_b32 exec_lo, exec_lo, s1
	v_mov_b32_e32 v16, 0
	v_readfirstlane_b32 s4, v0
	v_readfirstlane_b32 s5, v1
	s_mov_b32 s1, exec_lo
	s_clause 0x1
	global_load_b64 v[3:4], v16, s[2:3] offset:40
	global_load_b128 v[10:13], v16, s[2:3]
	s_waitcnt vmcnt(1)
	v_readfirstlane_b32 s6, v3
	v_readfirstlane_b32 s7, v4
	s_delay_alu instid0(VALU_DEP_1) | instskip(NEXT) | instid1(SALU_CYCLE_1)
	s_and_b64 s[6:7], s[4:5], s[6:7]
	s_mul_i32 s10, s7, 24
	s_mul_hi_u32 s11, s6, 24
	s_mul_i32 s12, s6, 24
	s_add_i32 s11, s11, s10
	s_waitcnt vmcnt(0)
	v_add_co_u32 v0, vcc_lo, v10, s12
	v_add_co_ci_u32_e32 v1, vcc_lo, s11, v11, vcc_lo
	s_and_saveexec_b32 s10, s0
	s_cbranch_execz .LBB1_123
; %bb.122:
	v_dual_mov_b32 v17, s1 :: v_dual_mov_b32 v18, v16
	v_dual_mov_b32 v19, 2 :: v_dual_mov_b32 v20, 1
	global_store_b128 v[0:1], v[17:20], off offset:8
.LBB1_123:
	s_or_b32 exec_lo, exec_lo, s10
	s_lshl_b64 s[6:7], s[6:7], 12
	s_mov_b32 s12, 0
	v_add_co_u32 v3, vcc_lo, v12, s6
	v_add_co_ci_u32_e32 v4, vcc_lo, s7, v13, vcc_lo
	s_mov_b32 s15, s12
	s_delay_alu instid0(VALU_DEP_2)
	v_readfirstlane_b32 s6, v3
	v_add_co_u32 v3, vcc_lo, v3, v39
	s_mov_b32 s13, s12
	s_mov_b32 s14, s12
	v_and_or_b32 v14, 0xffffff1f, v14, 32
	v_mov_b32_e32 v17, v16
	v_readfirstlane_b32 s7, v4
	v_dual_mov_b32 v21, s15 :: v_dual_mov_b32 v18, s12
	v_add_co_ci_u32_e32 v4, vcc_lo, 0, v4, vcc_lo
	v_dual_mov_b32 v20, s14 :: v_dual_mov_b32 v19, s13
	s_clause 0x3
	global_store_b128 v39, v[14:17], s[6:7]
	global_store_b128 v39, v[18:21], s[6:7] offset:16
	global_store_b128 v39, v[18:21], s[6:7] offset:32
	;; [unrolled: 1-line block ×3, first 2 shown]
	s_and_saveexec_b32 s1, s0
	s_cbranch_execz .LBB1_131
; %bb.124:
	v_dual_mov_b32 v5, 0 :: v_dual_mov_b32 v16, s4
	v_mov_b32_e32 v17, s5
	s_clause 0x1
	global_load_b64 v[18:19], v5, s[2:3] offset:32 glc
	global_load_b64 v[12:13], v5, s[2:3] offset:40
	s_waitcnt vmcnt(0)
	v_readfirstlane_b32 s6, v12
	v_readfirstlane_b32 s7, v13
	s_delay_alu instid0(VALU_DEP_1) | instskip(NEXT) | instid1(SALU_CYCLE_1)
	s_and_b64 s[6:7], s[6:7], s[4:5]
	s_mul_i32 s7, s7, 24
	s_mul_hi_u32 s10, s6, 24
	s_mul_i32 s6, s6, 24
	s_add_i32 s10, s10, s7
	v_add_co_u32 v14, vcc_lo, v10, s6
	v_add_co_ci_u32_e32 v15, vcc_lo, s10, v11, vcc_lo
	s_mov_b32 s6, exec_lo
	global_store_b64 v[14:15], v[18:19], off
	s_waitcnt_vscnt null, 0x0
	global_atomic_cmpswap_b64 v[12:13], v5, v[16:19], s[2:3] offset:32 glc
	s_waitcnt vmcnt(0)
	v_cmpx_ne_u64_e64 v[12:13], v[18:19]
	s_cbranch_execz .LBB1_127
; %bb.125:
	s_mov_b32 s7, 0
.LBB1_126:                              ; =>This Inner Loop Header: Depth=1
	v_dual_mov_b32 v10, s4 :: v_dual_mov_b32 v11, s5
	s_sleep 1
	global_store_b64 v[14:15], v[12:13], off
	s_waitcnt_vscnt null, 0x0
	global_atomic_cmpswap_b64 v[10:11], v5, v[10:13], s[2:3] offset:32 glc
	s_waitcnt vmcnt(0)
	v_cmp_eq_u64_e32 vcc_lo, v[10:11], v[12:13]
	v_dual_mov_b32 v13, v11 :: v_dual_mov_b32 v12, v10
	s_or_b32 s7, vcc_lo, s7
	s_delay_alu instid0(SALU_CYCLE_1)
	s_and_not1_b32 exec_lo, exec_lo, s7
	s_cbranch_execnz .LBB1_126
.LBB1_127:
	s_or_b32 exec_lo, exec_lo, s6
	v_mov_b32_e32 v13, 0
	s_mov_b32 s7, exec_lo
	s_mov_b32 s6, exec_lo
	v_mbcnt_lo_u32_b32 v5, s7, 0
	global_load_b64 v[10:11], v13, s[2:3] offset:16
	v_cmpx_eq_u32_e32 0, v5
	s_cbranch_execz .LBB1_129
; %bb.128:
	s_bcnt1_i32_b32 s7, s7
	s_delay_alu instid0(SALU_CYCLE_1)
	v_mov_b32_e32 v12, s7
	s_waitcnt vmcnt(0)
	global_atomic_add_u64 v[10:11], v[12:13], off offset:8
.LBB1_129:
	s_or_b32 exec_lo, exec_lo, s6
	s_waitcnt vmcnt(0)
	global_load_b64 v[12:13], v[10:11], off offset:16
	s_waitcnt vmcnt(0)
	v_cmp_eq_u64_e32 vcc_lo, 0, v[12:13]
	s_cbranch_vccnz .LBB1_131
; %bb.130:
	global_load_b32 v10, v[10:11], off offset:24
	v_mov_b32_e32 v11, 0
	s_waitcnt vmcnt(0)
	v_and_b32_e32 v5, 0xffffff, v10
	s_waitcnt_vscnt null, 0x0
	global_store_b64 v[12:13], v[10:11], off
	v_readfirstlane_b32 m0, v5
	s_sendmsg sendmsg(MSG_INTERRUPT)
.LBB1_131:
	s_or_b32 exec_lo, exec_lo, s1
	s_branch .LBB1_135
	.p2align	6
.LBB1_132:                              ;   in Loop: Header=BB1_135 Depth=1
	s_or_b32 exec_lo, exec_lo, s1
	s_delay_alu instid0(VALU_DEP_1) | instskip(NEXT) | instid1(VALU_DEP_1)
	v_readfirstlane_b32 s1, v5
	s_cmp_eq_u32 s1, 0
	s_cbranch_scc1 .LBB1_134
; %bb.133:                              ;   in Loop: Header=BB1_135 Depth=1
	s_sleep 1
	s_cbranch_execnz .LBB1_135
	s_branch .LBB1_137
	.p2align	6
.LBB1_134:
	s_branch .LBB1_137
.LBB1_135:                              ; =>This Inner Loop Header: Depth=1
	v_mov_b32_e32 v5, 1
	s_and_saveexec_b32 s1, s0
	s_cbranch_execz .LBB1_132
; %bb.136:                              ;   in Loop: Header=BB1_135 Depth=1
	global_load_b32 v5, v[0:1], off offset:20 glc
	s_waitcnt vmcnt(0)
	buffer_gl1_inv
	buffer_gl0_inv
	v_and_b32_e32 v5, 1, v5
	s_branch .LBB1_132
.LBB1_137:
	global_load_b64 v[10:11], v[3:4], off
	s_and_saveexec_b32 s1, s0
	s_cbranch_execz .LBB1_141
; %bb.138:
	v_mov_b32_e32 v3, 0
	s_clause 0x2
	global_load_b64 v[0:1], v3, s[2:3] offset:40
	global_load_b64 v[4:5], v3, s[2:3] offset:24 glc
	global_load_b64 v[14:15], v3, s[2:3]
	s_waitcnt vmcnt(2)
	v_add_co_u32 v16, vcc_lo, v0, 1
	v_add_co_ci_u32_e32 v17, vcc_lo, 0, v1, vcc_lo
	s_delay_alu instid0(VALU_DEP_2) | instskip(NEXT) | instid1(VALU_DEP_2)
	v_add_co_u32 v12, vcc_lo, v16, s4
	v_add_co_ci_u32_e32 v13, vcc_lo, s5, v17, vcc_lo
	s_delay_alu instid0(VALU_DEP_1) | instskip(SKIP_1) | instid1(VALU_DEP_1)
	v_cmp_eq_u64_e32 vcc_lo, 0, v[12:13]
	v_dual_cndmask_b32 v12, v12, v16 :: v_dual_cndmask_b32 v13, v13, v17
	v_and_b32_e32 v0, v12, v0
	s_delay_alu instid0(VALU_DEP_2) | instskip(NEXT) | instid1(VALU_DEP_2)
	v_and_b32_e32 v1, v13, v1
	v_mul_hi_u32 v16, v0, 24
	v_mul_lo_u32 v0, v0, 24
	s_waitcnt vmcnt(0)
	s_delay_alu instid0(VALU_DEP_1) | instskip(SKIP_2) | instid1(VALU_DEP_1)
	v_add_co_u32 v0, vcc_lo, v14, v0
	v_mov_b32_e32 v14, v4
	v_mul_lo_u32 v1, v1, 24
	v_add_nc_u32_e32 v1, v16, v1
	s_delay_alu instid0(VALU_DEP_1)
	v_add_co_ci_u32_e32 v1, vcc_lo, v15, v1, vcc_lo
	v_mov_b32_e32 v15, v5
	global_store_b64 v[0:1], v[4:5], off
	s_waitcnt_vscnt null, 0x0
	global_atomic_cmpswap_b64 v[14:15], v3, v[12:15], s[2:3] offset:24 glc
	s_waitcnt vmcnt(0)
	v_cmp_ne_u64_e32 vcc_lo, v[14:15], v[4:5]
	s_and_b32 exec_lo, exec_lo, vcc_lo
	s_cbranch_execz .LBB1_141
; %bb.139:
	s_mov_b32 s0, 0
.LBB1_140:                              ; =>This Inner Loop Header: Depth=1
	s_sleep 1
	global_store_b64 v[0:1], v[14:15], off
	s_waitcnt_vscnt null, 0x0
	global_atomic_cmpswap_b64 v[4:5], v3, v[12:15], s[2:3] offset:24 glc
	s_waitcnt vmcnt(0)
	v_cmp_eq_u64_e32 vcc_lo, v[4:5], v[14:15]
	v_dual_mov_b32 v15, v5 :: v_dual_mov_b32 v14, v4
	s_or_b32 s0, vcc_lo, s0
	s_delay_alu instid0(SALU_CYCLE_1)
	s_and_not1_b32 exec_lo, exec_lo, s0
	s_cbranch_execnz .LBB1_140
.LBB1_141:
	s_or_b32 exec_lo, exec_lo, s1
.LBB1_142:
	v_mov_b32_e32 v0, 0
	s_getpc_b64 s[4:5]
	s_add_u32 s4, s4, .str.1@rel32@lo+4
	s_addc_u32 s5, s5, .str.1@rel32@hi+12
.LBB1_143:                              ; =>This Inner Loop Header: Depth=1
	global_load_u8 v1, v0, s[4:5]
	s_add_u32 s0, s4, 1
	s_addc_u32 s1, s5, 0
	s_delay_alu instid0(SALU_CYCLE_1)
	s_mov_b64 s[4:5], s[0:1]
	s_waitcnt vmcnt(0)
	v_cmp_ne_u16_e32 vcc_lo, 0, v1
	s_cbranch_vccnz .LBB1_143
; %bb.144:
	s_getpc_b64 s[4:5]
	s_add_u32 s4, s4, .str.1@rel32@lo+4
	s_addc_u32 s5, s5, .str.1@rel32@hi+12
	s_delay_alu instid0(SALU_CYCLE_1)
	s_cmp_lg_u64 s[4:5], 0
	s_cbranch_scc0 .LBB1_222
; %bb.145:
	v_dual_mov_b32 v16, 0 :: v_dual_and_b32 v5, 2, v10
	v_dual_mov_b32 v13, v11 :: v_dual_and_b32 v12, -3, v10
	v_dual_mov_b32 v17, 2 :: v_dual_mov_b32 v18, 1
	s_sub_i32 s6, s0, s4
	s_delay_alu instid0(SALU_CYCLE_1)
	s_ashr_i32 s7, s6, 31
	s_branch .LBB1_147
.LBB1_146:                              ;   in Loop: Header=BB1_147 Depth=1
	s_or_b32 exec_lo, exec_lo, s1
	s_sub_u32 s6, s6, s10
	s_subb_u32 s7, s7, s11
	s_add_u32 s4, s4, s10
	s_addc_u32 s5, s5, s11
	s_cmp_lg_u64 s[6:7], 0
	s_cbranch_scc0 .LBB1_223
.LBB1_147:                              ; =>This Loop Header: Depth=1
                                        ;     Child Loop BB1_156 Depth 2
                                        ;     Child Loop BB1_152 Depth 2
                                        ;     Child Loop BB1_164 Depth 2
                                        ;     Child Loop BB1_171 Depth 2
                                        ;     Child Loop BB1_178 Depth 2
                                        ;     Child Loop BB1_185 Depth 2
                                        ;     Child Loop BB1_192 Depth 2
                                        ;     Child Loop BB1_199 Depth 2
                                        ;     Child Loop BB1_207 Depth 2
                                        ;     Child Loop BB1_216 Depth 2
                                        ;     Child Loop BB1_221 Depth 2
	v_cmp_lt_u64_e64 s0, s[6:7], 56
	v_cmp_gt_u64_e64 s1, s[6:7], 7
                                        ; implicit-def: $vgpr21_vgpr22
                                        ; implicit-def: $sgpr16
	s_delay_alu instid0(VALU_DEP_2) | instskip(SKIP_2) | instid1(VALU_DEP_1)
	s_and_b32 s0, s0, exec_lo
	s_cselect_b32 s11, s7, 0
	s_cselect_b32 s10, s6, 56
	s_and_b32 vcc_lo, exec_lo, s1
	s_mov_b32 s0, -1
	s_cbranch_vccz .LBB1_154
; %bb.148:                              ;   in Loop: Header=BB1_147 Depth=1
	s_and_not1_b32 vcc_lo, exec_lo, s0
	s_mov_b64 s[0:1], s[4:5]
	s_cbranch_vccz .LBB1_158
.LBB1_149:                              ;   in Loop: Header=BB1_147 Depth=1
	s_cmp_gt_u32 s16, 7
	s_cbranch_scc1 .LBB1_159
.LBB1_150:                              ;   in Loop: Header=BB1_147 Depth=1
	v_mov_b32_e32 v23, 0
	v_mov_b32_e32 v24, 0
	s_cmp_eq_u32 s16, 0
	s_cbranch_scc1 .LBB1_153
; %bb.151:                              ;   in Loop: Header=BB1_147 Depth=1
	s_mov_b64 s[12:13], 0
	s_mov_b64 s[14:15], 0
.LBB1_152:                              ;   Parent Loop BB1_147 Depth=1
                                        ; =>  This Inner Loop Header: Depth=2
	s_delay_alu instid0(SALU_CYCLE_1)
	s_add_u32 s18, s0, s14
	s_addc_u32 s19, s1, s15
	s_add_u32 s14, s14, 1
	global_load_u8 v0, v16, s[18:19]
	s_addc_u32 s15, s15, 0
	s_waitcnt vmcnt(0)
	v_and_b32_e32 v15, 0xffff, v0
	s_delay_alu instid0(VALU_DEP_1) | instskip(SKIP_3) | instid1(VALU_DEP_1)
	v_lshlrev_b64 v[0:1], s12, v[15:16]
	s_add_u32 s12, s12, 8
	s_addc_u32 s13, s13, 0
	s_cmp_lg_u32 s16, s14
	v_or_b32_e32 v23, v0, v23
	s_delay_alu instid0(VALU_DEP_2)
	v_or_b32_e32 v24, v1, v24
	s_cbranch_scc1 .LBB1_152
.LBB1_153:                              ;   in Loop: Header=BB1_147 Depth=1
	s_mov_b32 s17, 0
	s_cbranch_execz .LBB1_160
	s_branch .LBB1_161
.LBB1_154:                              ;   in Loop: Header=BB1_147 Depth=1
	v_mov_b32_e32 v21, 0
	v_mov_b32_e32 v22, 0
	s_cmp_eq_u64 s[6:7], 0
	s_mov_b64 s[0:1], 0
	s_cbranch_scc1 .LBB1_157
; %bb.155:                              ;   in Loop: Header=BB1_147 Depth=1
	v_mov_b32_e32 v21, 0
	v_mov_b32_e32 v22, 0
	s_lshl_b64 s[12:13], s[10:11], 3
	s_mov_b64 s[14:15], s[4:5]
.LBB1_156:                              ;   Parent Loop BB1_147 Depth=1
                                        ; =>  This Inner Loop Header: Depth=2
	global_load_u8 v0, v16, s[14:15]
	s_waitcnt vmcnt(0)
	v_and_b32_e32 v15, 0xffff, v0
	s_delay_alu instid0(VALU_DEP_1)
	v_lshlrev_b64 v[0:1], s0, v[15:16]
	s_add_u32 s0, s0, 8
	s_addc_u32 s1, s1, 0
	s_add_u32 s14, s14, 1
	s_addc_u32 s15, s15, 0
	s_cmp_lg_u32 s12, s0
	v_or_b32_e32 v21, v0, v21
	v_or_b32_e32 v22, v1, v22
	s_cbranch_scc1 .LBB1_156
.LBB1_157:                              ;   in Loop: Header=BB1_147 Depth=1
	s_mov_b32 s16, 0
	s_mov_b64 s[0:1], s[4:5]
	s_cbranch_execnz .LBB1_149
.LBB1_158:                              ;   in Loop: Header=BB1_147 Depth=1
	global_load_b64 v[21:22], v16, s[4:5]
	s_add_i32 s16, s10, -8
	s_add_u32 s0, s4, 8
	s_addc_u32 s1, s5, 0
	s_cmp_gt_u32 s16, 7
	s_cbranch_scc0 .LBB1_150
.LBB1_159:                              ;   in Loop: Header=BB1_147 Depth=1
                                        ; implicit-def: $vgpr23_vgpr24
                                        ; implicit-def: $sgpr17
.LBB1_160:                              ;   in Loop: Header=BB1_147 Depth=1
	global_load_b64 v[23:24], v16, s[0:1]
	s_add_i32 s17, s16, -8
	s_add_u32 s0, s0, 8
	s_addc_u32 s1, s1, 0
.LBB1_161:                              ;   in Loop: Header=BB1_147 Depth=1
	s_cmp_gt_u32 s17, 7
	s_cbranch_scc1 .LBB1_166
; %bb.162:                              ;   in Loop: Header=BB1_147 Depth=1
	v_mov_b32_e32 v25, 0
	v_mov_b32_e32 v26, 0
	s_cmp_eq_u32 s17, 0
	s_cbranch_scc1 .LBB1_165
; %bb.163:                              ;   in Loop: Header=BB1_147 Depth=1
	s_mov_b64 s[12:13], 0
	s_mov_b64 s[14:15], 0
.LBB1_164:                              ;   Parent Loop BB1_147 Depth=1
                                        ; =>  This Inner Loop Header: Depth=2
	s_delay_alu instid0(SALU_CYCLE_1)
	s_add_u32 s18, s0, s14
	s_addc_u32 s19, s1, s15
	s_add_u32 s14, s14, 1
	global_load_u8 v0, v16, s[18:19]
	s_addc_u32 s15, s15, 0
	s_waitcnt vmcnt(0)
	v_and_b32_e32 v15, 0xffff, v0
	s_delay_alu instid0(VALU_DEP_1) | instskip(SKIP_3) | instid1(VALU_DEP_1)
	v_lshlrev_b64 v[0:1], s12, v[15:16]
	s_add_u32 s12, s12, 8
	s_addc_u32 s13, s13, 0
	s_cmp_lg_u32 s17, s14
	v_or_b32_e32 v25, v0, v25
	s_delay_alu instid0(VALU_DEP_2)
	v_or_b32_e32 v26, v1, v26
	s_cbranch_scc1 .LBB1_164
.LBB1_165:                              ;   in Loop: Header=BB1_147 Depth=1
	s_mov_b32 s16, 0
	s_cbranch_execz .LBB1_167
	s_branch .LBB1_168
.LBB1_166:                              ;   in Loop: Header=BB1_147 Depth=1
                                        ; implicit-def: $sgpr16
.LBB1_167:                              ;   in Loop: Header=BB1_147 Depth=1
	global_load_b64 v[25:26], v16, s[0:1]
	s_add_i32 s16, s17, -8
	s_add_u32 s0, s0, 8
	s_addc_u32 s1, s1, 0
.LBB1_168:                              ;   in Loop: Header=BB1_147 Depth=1
	s_cmp_gt_u32 s16, 7
	s_cbranch_scc1 .LBB1_173
; %bb.169:                              ;   in Loop: Header=BB1_147 Depth=1
	v_mov_b32_e32 v27, 0
	v_mov_b32_e32 v28, 0
	s_cmp_eq_u32 s16, 0
	s_cbranch_scc1 .LBB1_172
; %bb.170:                              ;   in Loop: Header=BB1_147 Depth=1
	s_mov_b64 s[12:13], 0
	s_mov_b64 s[14:15], 0
.LBB1_171:                              ;   Parent Loop BB1_147 Depth=1
                                        ; =>  This Inner Loop Header: Depth=2
	s_delay_alu instid0(SALU_CYCLE_1)
	s_add_u32 s18, s0, s14
	s_addc_u32 s19, s1, s15
	s_add_u32 s14, s14, 1
	global_load_u8 v0, v16, s[18:19]
	s_addc_u32 s15, s15, 0
	s_waitcnt vmcnt(0)
	v_and_b32_e32 v15, 0xffff, v0
	s_delay_alu instid0(VALU_DEP_1) | instskip(SKIP_3) | instid1(VALU_DEP_1)
	v_lshlrev_b64 v[0:1], s12, v[15:16]
	s_add_u32 s12, s12, 8
	s_addc_u32 s13, s13, 0
	s_cmp_lg_u32 s16, s14
	v_or_b32_e32 v27, v0, v27
	s_delay_alu instid0(VALU_DEP_2)
	v_or_b32_e32 v28, v1, v28
	s_cbranch_scc1 .LBB1_171
.LBB1_172:                              ;   in Loop: Header=BB1_147 Depth=1
	s_mov_b32 s17, 0
	s_cbranch_execz .LBB1_174
	s_branch .LBB1_175
.LBB1_173:                              ;   in Loop: Header=BB1_147 Depth=1
                                        ; implicit-def: $vgpr27_vgpr28
                                        ; implicit-def: $sgpr17
.LBB1_174:                              ;   in Loop: Header=BB1_147 Depth=1
	global_load_b64 v[27:28], v16, s[0:1]
	s_add_i32 s17, s16, -8
	s_add_u32 s0, s0, 8
	s_addc_u32 s1, s1, 0
.LBB1_175:                              ;   in Loop: Header=BB1_147 Depth=1
	s_cmp_gt_u32 s17, 7
	s_cbranch_scc1 .LBB1_180
; %bb.176:                              ;   in Loop: Header=BB1_147 Depth=1
	v_mov_b32_e32 v29, 0
	v_mov_b32_e32 v30, 0
	s_cmp_eq_u32 s17, 0
	s_cbranch_scc1 .LBB1_179
; %bb.177:                              ;   in Loop: Header=BB1_147 Depth=1
	s_mov_b64 s[12:13], 0
	s_mov_b64 s[14:15], 0
.LBB1_178:                              ;   Parent Loop BB1_147 Depth=1
                                        ; =>  This Inner Loop Header: Depth=2
	s_delay_alu instid0(SALU_CYCLE_1)
	s_add_u32 s18, s0, s14
	s_addc_u32 s19, s1, s15
	s_add_u32 s14, s14, 1
	global_load_u8 v0, v16, s[18:19]
	s_addc_u32 s15, s15, 0
	s_waitcnt vmcnt(0)
	v_and_b32_e32 v15, 0xffff, v0
	s_delay_alu instid0(VALU_DEP_1) | instskip(SKIP_3) | instid1(VALU_DEP_1)
	v_lshlrev_b64 v[0:1], s12, v[15:16]
	s_add_u32 s12, s12, 8
	s_addc_u32 s13, s13, 0
	s_cmp_lg_u32 s17, s14
	v_or_b32_e32 v29, v0, v29
	s_delay_alu instid0(VALU_DEP_2)
	v_or_b32_e32 v30, v1, v30
	s_cbranch_scc1 .LBB1_178
.LBB1_179:                              ;   in Loop: Header=BB1_147 Depth=1
	s_mov_b32 s16, 0
	s_cbranch_execz .LBB1_181
	s_branch .LBB1_182
.LBB1_180:                              ;   in Loop: Header=BB1_147 Depth=1
                                        ; implicit-def: $sgpr16
.LBB1_181:                              ;   in Loop: Header=BB1_147 Depth=1
	global_load_b64 v[29:30], v16, s[0:1]
	s_add_i32 s16, s17, -8
	s_add_u32 s0, s0, 8
	s_addc_u32 s1, s1, 0
.LBB1_182:                              ;   in Loop: Header=BB1_147 Depth=1
	s_cmp_gt_u32 s16, 7
	s_cbranch_scc1 .LBB1_187
; %bb.183:                              ;   in Loop: Header=BB1_147 Depth=1
	v_mov_b32_e32 v31, 0
	v_mov_b32_e32 v32, 0
	s_cmp_eq_u32 s16, 0
	s_cbranch_scc1 .LBB1_186
; %bb.184:                              ;   in Loop: Header=BB1_147 Depth=1
	s_mov_b64 s[12:13], 0
	s_mov_b64 s[14:15], 0
.LBB1_185:                              ;   Parent Loop BB1_147 Depth=1
                                        ; =>  This Inner Loop Header: Depth=2
	s_delay_alu instid0(SALU_CYCLE_1)
	s_add_u32 s18, s0, s14
	s_addc_u32 s19, s1, s15
	s_add_u32 s14, s14, 1
	global_load_u8 v0, v16, s[18:19]
	s_addc_u32 s15, s15, 0
	s_waitcnt vmcnt(0)
	v_and_b32_e32 v15, 0xffff, v0
	s_delay_alu instid0(VALU_DEP_1) | instskip(SKIP_3) | instid1(VALU_DEP_1)
	v_lshlrev_b64 v[0:1], s12, v[15:16]
	s_add_u32 s12, s12, 8
	s_addc_u32 s13, s13, 0
	s_cmp_lg_u32 s16, s14
	v_or_b32_e32 v31, v0, v31
	s_delay_alu instid0(VALU_DEP_2)
	v_or_b32_e32 v32, v1, v32
	s_cbranch_scc1 .LBB1_185
.LBB1_186:                              ;   in Loop: Header=BB1_147 Depth=1
	s_mov_b32 s17, 0
	s_cbranch_execz .LBB1_188
	s_branch .LBB1_189
.LBB1_187:                              ;   in Loop: Header=BB1_147 Depth=1
                                        ; implicit-def: $vgpr31_vgpr32
                                        ; implicit-def: $sgpr17
.LBB1_188:                              ;   in Loop: Header=BB1_147 Depth=1
	global_load_b64 v[31:32], v16, s[0:1]
	s_add_i32 s17, s16, -8
	s_add_u32 s0, s0, 8
	s_addc_u32 s1, s1, 0
.LBB1_189:                              ;   in Loop: Header=BB1_147 Depth=1
	s_cmp_gt_u32 s17, 7
	s_cbranch_scc1 .LBB1_194
; %bb.190:                              ;   in Loop: Header=BB1_147 Depth=1
	v_mov_b32_e32 v33, 0
	v_mov_b32_e32 v34, 0
	s_cmp_eq_u32 s17, 0
	s_cbranch_scc1 .LBB1_193
; %bb.191:                              ;   in Loop: Header=BB1_147 Depth=1
	s_mov_b64 s[12:13], 0
	s_mov_b64 s[14:15], s[0:1]
.LBB1_192:                              ;   Parent Loop BB1_147 Depth=1
                                        ; =>  This Inner Loop Header: Depth=2
	global_load_u8 v0, v16, s[14:15]
	s_add_i32 s17, s17, -1
	s_waitcnt vmcnt(0)
	v_and_b32_e32 v15, 0xffff, v0
	s_delay_alu instid0(VALU_DEP_1)
	v_lshlrev_b64 v[0:1], s12, v[15:16]
	s_add_u32 s12, s12, 8
	s_addc_u32 s13, s13, 0
	s_add_u32 s14, s14, 1
	s_addc_u32 s15, s15, 0
	s_cmp_lg_u32 s17, 0
	v_or_b32_e32 v33, v0, v33
	v_or_b32_e32 v34, v1, v34
	s_cbranch_scc1 .LBB1_192
.LBB1_193:                              ;   in Loop: Header=BB1_147 Depth=1
	s_cbranch_execz .LBB1_195
	s_branch .LBB1_196
.LBB1_194:                              ;   in Loop: Header=BB1_147 Depth=1
.LBB1_195:                              ;   in Loop: Header=BB1_147 Depth=1
	global_load_b64 v[33:34], v16, s[0:1]
.LBB1_196:                              ;   in Loop: Header=BB1_147 Depth=1
	v_readfirstlane_b32 s0, v48
	v_mov_b32_e32 v0, 0
	v_mov_b32_e32 v1, 0
	s_delay_alu instid0(VALU_DEP_3) | instskip(NEXT) | instid1(VALU_DEP_1)
	v_cmp_eq_u32_e64 s0, s0, v48
	s_and_saveexec_b32 s1, s0
	s_cbranch_execz .LBB1_202
; %bb.197:                              ;   in Loop: Header=BB1_147 Depth=1
	global_load_b64 v[37:38], v16, s[2:3] offset:24 glc
	s_waitcnt vmcnt(0)
	buffer_gl1_inv
	buffer_gl0_inv
	s_clause 0x1
	global_load_b64 v[0:1], v16, s[2:3] offset:40
	global_load_b64 v[3:4], v16, s[2:3]
	s_mov_b32 s12, exec_lo
	s_waitcnt vmcnt(1)
	v_and_b32_e32 v1, v1, v38
	v_and_b32_e32 v0, v0, v37
	s_delay_alu instid0(VALU_DEP_2) | instskip(NEXT) | instid1(VALU_DEP_2)
	v_mul_lo_u32 v1, v1, 24
	v_mul_hi_u32 v14, v0, 24
	v_mul_lo_u32 v0, v0, 24
	s_delay_alu instid0(VALU_DEP_2) | instskip(SKIP_1) | instid1(VALU_DEP_2)
	v_add_nc_u32_e32 v1, v14, v1
	s_waitcnt vmcnt(0)
	v_add_co_u32 v0, vcc_lo, v3, v0
	s_delay_alu instid0(VALU_DEP_2)
	v_add_co_ci_u32_e32 v1, vcc_lo, v4, v1, vcc_lo
	global_load_b64 v[35:36], v[0:1], off glc
	s_waitcnt vmcnt(0)
	global_atomic_cmpswap_b64 v[0:1], v16, v[35:38], s[2:3] offset:24 glc
	s_waitcnt vmcnt(0)
	buffer_gl1_inv
	buffer_gl0_inv
	v_cmpx_ne_u64_e64 v[0:1], v[37:38]
	s_cbranch_execz .LBB1_201
; %bb.198:                              ;   in Loop: Header=BB1_147 Depth=1
	s_mov_b32 s13, 0
	.p2align	6
.LBB1_199:                              ;   Parent Loop BB1_147 Depth=1
                                        ; =>  This Inner Loop Header: Depth=2
	s_sleep 1
	s_clause 0x1
	global_load_b64 v[3:4], v16, s[2:3] offset:40
	global_load_b64 v[14:15], v16, s[2:3]
	v_dual_mov_b32 v38, v1 :: v_dual_mov_b32 v37, v0
	s_waitcnt vmcnt(1)
	s_delay_alu instid0(VALU_DEP_1) | instskip(SKIP_1) | instid1(VALU_DEP_1)
	v_and_b32_e32 v3, v3, v37
	s_waitcnt vmcnt(0)
	v_mad_u64_u32 v[0:1], null, v3, 24, v[14:15]
	v_and_b32_e32 v14, v4, v38
	s_delay_alu instid0(VALU_DEP_1) | instskip(NEXT) | instid1(VALU_DEP_1)
	v_mad_u64_u32 v[3:4], null, v14, 24, v[1:2]
	v_mov_b32_e32 v1, v3
	global_load_b64 v[35:36], v[0:1], off glc
	s_waitcnt vmcnt(0)
	global_atomic_cmpswap_b64 v[0:1], v16, v[35:38], s[2:3] offset:24 glc
	s_waitcnt vmcnt(0)
	buffer_gl1_inv
	buffer_gl0_inv
	v_cmp_eq_u64_e32 vcc_lo, v[0:1], v[37:38]
	s_or_b32 s13, vcc_lo, s13
	s_delay_alu instid0(SALU_CYCLE_1)
	s_and_not1_b32 exec_lo, exec_lo, s13
	s_cbranch_execnz .LBB1_199
; %bb.200:                              ;   in Loop: Header=BB1_147 Depth=1
	s_or_b32 exec_lo, exec_lo, s13
.LBB1_201:                              ;   in Loop: Header=BB1_147 Depth=1
	s_delay_alu instid0(SALU_CYCLE_1)
	s_or_b32 exec_lo, exec_lo, s12
.LBB1_202:                              ;   in Loop: Header=BB1_147 Depth=1
	s_delay_alu instid0(SALU_CYCLE_1)
	s_or_b32 exec_lo, exec_lo, s1
	s_clause 0x1
	global_load_b64 v[3:4], v16, s[2:3] offset:40
	global_load_b128 v[35:38], v16, s[2:3]
	v_readfirstlane_b32 s12, v0
	v_readfirstlane_b32 s13, v1
	s_mov_b32 s1, exec_lo
	s_waitcnt vmcnt(1)
	v_readfirstlane_b32 s14, v3
	v_readfirstlane_b32 s15, v4
	s_delay_alu instid0(VALU_DEP_1) | instskip(NEXT) | instid1(SALU_CYCLE_1)
	s_and_b64 s[14:15], s[12:13], s[14:15]
	s_mul_i32 s16, s15, 24
	s_mul_hi_u32 s17, s14, 24
	s_mul_i32 s18, s14, 24
	s_add_i32 s17, s17, s16
	s_waitcnt vmcnt(0)
	v_add_co_u32 v0, vcc_lo, v35, s18
	v_add_co_ci_u32_e32 v1, vcc_lo, s17, v36, vcc_lo
	s_and_saveexec_b32 s16, s0
	s_cbranch_execz .LBB1_204
; %bb.203:                              ;   in Loop: Header=BB1_147 Depth=1
	v_mov_b32_e32 v15, s1
	global_store_b128 v[0:1], v[15:18], off offset:8
.LBB1_204:                              ;   in Loop: Header=BB1_147 Depth=1
	s_or_b32 exec_lo, exec_lo, s16
	s_lshl_b64 s[14:15], s[14:15], 12
	v_cmp_gt_u64_e64 vcc_lo, s[6:7], 56
	v_or_b32_e32 v3, 0, v13
	v_or_b32_e32 v4, v12, v5
	v_add_co_u32 v37, s1, v37, s14
	s_delay_alu instid0(VALU_DEP_1) | instskip(SKIP_1) | instid1(VALU_DEP_3)
	v_add_co_ci_u32_e64 v38, s1, s15, v38, s1
	s_lshl_b32 s1, s10, 2
	v_dual_cndmask_b32 v20, v3, v13 :: v_dual_cndmask_b32 v3, v4, v12
	s_add_i32 s1, s1, 28
	v_readfirstlane_b32 s14, v37
	s_and_b32 s1, s1, 0x1e0
	v_readfirstlane_b32 s15, v38
	v_and_or_b32 v19, 0xffffff1f, v3, s1
	s_clause 0x3
	global_store_b128 v39, v[19:22], s[14:15]
	global_store_b128 v39, v[23:26], s[14:15] offset:16
	global_store_b128 v39, v[27:30], s[14:15] offset:32
	;; [unrolled: 1-line block ×3, first 2 shown]
	s_and_saveexec_b32 s1, s0
	s_cbranch_execz .LBB1_212
; %bb.205:                              ;   in Loop: Header=BB1_147 Depth=1
	s_clause 0x1
	global_load_b64 v[21:22], v16, s[2:3] offset:32 glc
	global_load_b64 v[3:4], v16, s[2:3] offset:40
	v_dual_mov_b32 v19, s12 :: v_dual_mov_b32 v20, s13
	s_waitcnt vmcnt(0)
	v_readfirstlane_b32 s14, v3
	v_readfirstlane_b32 s15, v4
	s_delay_alu instid0(VALU_DEP_1) | instskip(NEXT) | instid1(SALU_CYCLE_1)
	s_and_b64 s[14:15], s[14:15], s[12:13]
	s_mul_i32 s15, s15, 24
	s_mul_hi_u32 s16, s14, 24
	s_mul_i32 s14, s14, 24
	s_add_i32 s16, s16, s15
	v_add_co_u32 v3, vcc_lo, v35, s14
	v_add_co_ci_u32_e32 v4, vcc_lo, s16, v36, vcc_lo
	s_mov_b32 s14, exec_lo
	global_store_b64 v[3:4], v[21:22], off
	s_waitcnt_vscnt null, 0x0
	global_atomic_cmpswap_b64 v[14:15], v16, v[19:22], s[2:3] offset:32 glc
	s_waitcnt vmcnt(0)
	v_cmpx_ne_u64_e64 v[14:15], v[21:22]
	s_cbranch_execz .LBB1_208
; %bb.206:                              ;   in Loop: Header=BB1_147 Depth=1
	s_mov_b32 s15, 0
.LBB1_207:                              ;   Parent Loop BB1_147 Depth=1
                                        ; =>  This Inner Loop Header: Depth=2
	v_dual_mov_b32 v12, s12 :: v_dual_mov_b32 v13, s13
	s_sleep 1
	global_store_b64 v[3:4], v[14:15], off
	s_waitcnt_vscnt null, 0x0
	global_atomic_cmpswap_b64 v[12:13], v16, v[12:15], s[2:3] offset:32 glc
	s_waitcnt vmcnt(0)
	v_cmp_eq_u64_e32 vcc_lo, v[12:13], v[14:15]
	v_dual_mov_b32 v15, v13 :: v_dual_mov_b32 v14, v12
	s_or_b32 s15, vcc_lo, s15
	s_delay_alu instid0(SALU_CYCLE_1)
	s_and_not1_b32 exec_lo, exec_lo, s15
	s_cbranch_execnz .LBB1_207
.LBB1_208:                              ;   in Loop: Header=BB1_147 Depth=1
	s_or_b32 exec_lo, exec_lo, s14
	global_load_b64 v[3:4], v16, s[2:3] offset:16
	s_mov_b32 s15, exec_lo
	s_mov_b32 s14, exec_lo
	v_mbcnt_lo_u32_b32 v12, s15, 0
	s_delay_alu instid0(VALU_DEP_1)
	v_cmpx_eq_u32_e32 0, v12
	s_cbranch_execz .LBB1_210
; %bb.209:                              ;   in Loop: Header=BB1_147 Depth=1
	s_bcnt1_i32_b32 s15, s15
	s_delay_alu instid0(SALU_CYCLE_1)
	v_mov_b32_e32 v15, s15
	s_waitcnt vmcnt(0)
	global_atomic_add_u64 v[3:4], v[15:16], off offset:8
.LBB1_210:                              ;   in Loop: Header=BB1_147 Depth=1
	s_or_b32 exec_lo, exec_lo, s14
	s_waitcnt vmcnt(0)
	global_load_b64 v[12:13], v[3:4], off offset:16
	s_waitcnt vmcnt(0)
	v_cmp_eq_u64_e32 vcc_lo, 0, v[12:13]
	s_cbranch_vccnz .LBB1_212
; %bb.211:                              ;   in Loop: Header=BB1_147 Depth=1
	global_load_b32 v15, v[3:4], off offset:24
	s_waitcnt vmcnt(0)
	v_and_b32_e32 v3, 0xffffff, v15
	s_waitcnt_vscnt null, 0x0
	global_store_b64 v[12:13], v[15:16], off
	v_readfirstlane_b32 m0, v3
	s_sendmsg sendmsg(MSG_INTERRUPT)
.LBB1_212:                              ;   in Loop: Header=BB1_147 Depth=1
	s_or_b32 exec_lo, exec_lo, s1
	v_add_co_u32 v3, vcc_lo, v37, v39
	v_add_co_ci_u32_e32 v4, vcc_lo, 0, v38, vcc_lo
	s_branch .LBB1_216
	.p2align	6
.LBB1_213:                              ;   in Loop: Header=BB1_216 Depth=2
	s_or_b32 exec_lo, exec_lo, s1
	s_delay_alu instid0(VALU_DEP_1) | instskip(NEXT) | instid1(VALU_DEP_1)
	v_readfirstlane_b32 s1, v12
	s_cmp_eq_u32 s1, 0
	s_cbranch_scc1 .LBB1_215
; %bb.214:                              ;   in Loop: Header=BB1_216 Depth=2
	s_sleep 1
	s_cbranch_execnz .LBB1_216
	s_branch .LBB1_218
	.p2align	6
.LBB1_215:                              ;   in Loop: Header=BB1_147 Depth=1
	s_branch .LBB1_218
.LBB1_216:                              ;   Parent Loop BB1_147 Depth=1
                                        ; =>  This Inner Loop Header: Depth=2
	v_mov_b32_e32 v12, 1
	s_and_saveexec_b32 s1, s0
	s_cbranch_execz .LBB1_213
; %bb.217:                              ;   in Loop: Header=BB1_216 Depth=2
	global_load_b32 v12, v[0:1], off offset:20 glc
	s_waitcnt vmcnt(0)
	buffer_gl1_inv
	buffer_gl0_inv
	v_and_b32_e32 v12, 1, v12
	s_branch .LBB1_213
.LBB1_218:                              ;   in Loop: Header=BB1_147 Depth=1
	global_load_b128 v[12:15], v[3:4], off
	s_and_saveexec_b32 s1, s0
	s_cbranch_execz .LBB1_146
; %bb.219:                              ;   in Loop: Header=BB1_147 Depth=1
	s_clause 0x2
	global_load_b64 v[0:1], v16, s[2:3] offset:40
	global_load_b64 v[3:4], v16, s[2:3] offset:24 glc
	global_load_b64 v[14:15], v16, s[2:3]
	s_waitcnt vmcnt(2)
	v_add_co_u32 v21, vcc_lo, v0, 1
	v_add_co_ci_u32_e32 v22, vcc_lo, 0, v1, vcc_lo
	s_delay_alu instid0(VALU_DEP_2) | instskip(NEXT) | instid1(VALU_DEP_2)
	v_add_co_u32 v19, vcc_lo, v21, s12
	v_add_co_ci_u32_e32 v20, vcc_lo, s13, v22, vcc_lo
	s_delay_alu instid0(VALU_DEP_1) | instskip(SKIP_3) | instid1(VALU_DEP_2)
	v_cmp_eq_u64_e32 vcc_lo, 0, v[19:20]
	v_dual_cndmask_b32 v20, v20, v22 :: v_dual_cndmask_b32 v19, v19, v21
	s_waitcnt vmcnt(1)
	v_mov_b32_e32 v22, v4
	v_and_b32_e32 v1, v20, v1
	s_delay_alu instid0(VALU_DEP_3) | instskip(NEXT) | instid1(VALU_DEP_2)
	v_and_b32_e32 v0, v19, v0
	v_mul_lo_u32 v1, v1, 24
	s_delay_alu instid0(VALU_DEP_2) | instskip(SKIP_1) | instid1(VALU_DEP_2)
	v_mul_hi_u32 v21, v0, 24
	v_mul_lo_u32 v0, v0, 24
	v_add_nc_u32_e32 v1, v21, v1
	s_waitcnt vmcnt(0)
	s_delay_alu instid0(VALU_DEP_2) | instskip(SKIP_1) | instid1(VALU_DEP_3)
	v_add_co_u32 v0, vcc_lo, v14, v0
	v_mov_b32_e32 v21, v3
	v_add_co_ci_u32_e32 v1, vcc_lo, v15, v1, vcc_lo
	global_store_b64 v[0:1], v[3:4], off
	s_waitcnt_vscnt null, 0x0
	global_atomic_cmpswap_b64 v[21:22], v16, v[19:22], s[2:3] offset:24 glc
	s_waitcnt vmcnt(0)
	v_cmp_ne_u64_e32 vcc_lo, v[21:22], v[3:4]
	s_and_b32 exec_lo, exec_lo, vcc_lo
	s_cbranch_execz .LBB1_146
; %bb.220:                              ;   in Loop: Header=BB1_147 Depth=1
	s_mov_b32 s0, 0
.LBB1_221:                              ;   Parent Loop BB1_147 Depth=1
                                        ; =>  This Inner Loop Header: Depth=2
	s_sleep 1
	global_store_b64 v[0:1], v[21:22], off
	s_waitcnt_vscnt null, 0x0
	global_atomic_cmpswap_b64 v[3:4], v16, v[19:22], s[2:3] offset:24 glc
	s_waitcnt vmcnt(0)
	v_cmp_eq_u64_e32 vcc_lo, v[3:4], v[21:22]
	v_dual_mov_b32 v22, v4 :: v_dual_mov_b32 v21, v3
	s_or_b32 s0, vcc_lo, s0
	s_delay_alu instid0(SALU_CYCLE_1)
	s_and_not1_b32 exec_lo, exec_lo, s0
	s_cbranch_execnz .LBB1_221
	s_branch .LBB1_146
.LBB1_222:
                                        ; implicit-def: $vgpr12_vgpr13
	s_cbranch_execnz .LBB1_224
	s_branch .LBB1_251
.LBB1_223:
	s_branch .LBB1_251
.LBB1_224:
	v_readfirstlane_b32 s0, v48
	v_mov_b32_e32 v0, 0
	v_mov_b32_e32 v1, 0
	s_delay_alu instid0(VALU_DEP_3) | instskip(NEXT) | instid1(VALU_DEP_1)
	v_cmp_eq_u32_e64 s0, s0, v48
	s_and_saveexec_b32 s1, s0
	s_cbranch_execz .LBB1_230
; %bb.225:
	v_mov_b32_e32 v3, 0
	s_mov_b32 s4, exec_lo
	global_load_b64 v[14:15], v3, s[2:3] offset:24 glc
	s_waitcnt vmcnt(0)
	buffer_gl1_inv
	buffer_gl0_inv
	s_clause 0x1
	global_load_b64 v[0:1], v3, s[2:3] offset:40
	global_load_b64 v[4:5], v3, s[2:3]
	s_waitcnt vmcnt(1)
	v_and_b32_e32 v0, v0, v14
	v_and_b32_e32 v1, v1, v15
	s_delay_alu instid0(VALU_DEP_2) | instskip(NEXT) | instid1(VALU_DEP_2)
	v_mul_hi_u32 v12, v0, 24
	v_mul_lo_u32 v1, v1, 24
	v_mul_lo_u32 v0, v0, 24
	s_delay_alu instid0(VALU_DEP_2) | instskip(SKIP_1) | instid1(VALU_DEP_2)
	v_add_nc_u32_e32 v1, v12, v1
	s_waitcnt vmcnt(0)
	v_add_co_u32 v0, vcc_lo, v4, v0
	s_delay_alu instid0(VALU_DEP_2)
	v_add_co_ci_u32_e32 v1, vcc_lo, v5, v1, vcc_lo
	global_load_b64 v[12:13], v[0:1], off glc
	s_waitcnt vmcnt(0)
	global_atomic_cmpswap_b64 v[0:1], v3, v[12:15], s[2:3] offset:24 glc
	s_waitcnt vmcnt(0)
	buffer_gl1_inv
	buffer_gl0_inv
	v_cmpx_ne_u64_e64 v[0:1], v[14:15]
	s_cbranch_execz .LBB1_229
; %bb.226:
	s_mov_b32 s5, 0
	.p2align	6
.LBB1_227:                              ; =>This Inner Loop Header: Depth=1
	s_sleep 1
	s_clause 0x1
	global_load_b64 v[4:5], v3, s[2:3] offset:40
	global_load_b64 v[12:13], v3, s[2:3]
	v_dual_mov_b32 v15, v1 :: v_dual_mov_b32 v14, v0
	s_waitcnt vmcnt(1)
	s_delay_alu instid0(VALU_DEP_1) | instskip(SKIP_1) | instid1(VALU_DEP_1)
	v_and_b32_e32 v4, v4, v14
	s_waitcnt vmcnt(0)
	v_mad_u64_u32 v[0:1], null, v4, 24, v[12:13]
	v_and_b32_e32 v12, v5, v15
	s_delay_alu instid0(VALU_DEP_1) | instskip(NEXT) | instid1(VALU_DEP_1)
	v_mad_u64_u32 v[4:5], null, v12, 24, v[1:2]
	v_mov_b32_e32 v1, v4
	global_load_b64 v[12:13], v[0:1], off glc
	s_waitcnt vmcnt(0)
	global_atomic_cmpswap_b64 v[0:1], v3, v[12:15], s[2:3] offset:24 glc
	s_waitcnt vmcnt(0)
	buffer_gl1_inv
	buffer_gl0_inv
	v_cmp_eq_u64_e32 vcc_lo, v[0:1], v[14:15]
	s_or_b32 s5, vcc_lo, s5
	s_delay_alu instid0(SALU_CYCLE_1)
	s_and_not1_b32 exec_lo, exec_lo, s5
	s_cbranch_execnz .LBB1_227
; %bb.228:
	s_or_b32 exec_lo, exec_lo, s5
.LBB1_229:
	s_delay_alu instid0(SALU_CYCLE_1)
	s_or_b32 exec_lo, exec_lo, s4
.LBB1_230:
	s_delay_alu instid0(SALU_CYCLE_1)
	s_or_b32 exec_lo, exec_lo, s1
	s_waitcnt vmcnt(0)
	v_mov_b32_e32 v12, 0
	v_readfirstlane_b32 s4, v0
	v_readfirstlane_b32 s5, v1
	s_mov_b32 s1, exec_lo
	s_clause 0x1
	global_load_b64 v[3:4], v12, s[2:3] offset:40
	global_load_b128 v[14:17], v12, s[2:3]
	s_waitcnt vmcnt(1)
	v_readfirstlane_b32 s6, v3
	v_readfirstlane_b32 s7, v4
	s_delay_alu instid0(VALU_DEP_1) | instskip(NEXT) | instid1(SALU_CYCLE_1)
	s_and_b64 s[6:7], s[4:5], s[6:7]
	s_mul_i32 s10, s7, 24
	s_mul_hi_u32 s11, s6, 24
	s_mul_i32 s12, s6, 24
	s_add_i32 s11, s11, s10
	s_waitcnt vmcnt(0)
	v_add_co_u32 v0, vcc_lo, v14, s12
	v_add_co_ci_u32_e32 v1, vcc_lo, s11, v15, vcc_lo
	s_and_saveexec_b32 s10, s0
	s_cbranch_execz .LBB1_232
; %bb.231:
	v_dual_mov_b32 v18, s1 :: v_dual_mov_b32 v19, v12
	v_dual_mov_b32 v20, 2 :: v_dual_mov_b32 v21, 1
	global_store_b128 v[0:1], v[18:21], off offset:8
.LBB1_232:
	s_or_b32 exec_lo, exec_lo, s10
	s_lshl_b64 s[6:7], s[6:7], 12
	s_mov_b32 s12, 0
	v_add_co_u32 v3, vcc_lo, v16, s6
	v_add_co_ci_u32_e32 v4, vcc_lo, s7, v17, vcc_lo
	s_mov_b32 s15, s12
	s_delay_alu instid0(VALU_DEP_2)
	v_readfirstlane_b32 s6, v3
	v_add_co_u32 v3, vcc_lo, v3, v39
	s_mov_b32 s13, s12
	s_mov_b32 s14, s12
	v_and_or_b32 v10, 0xffffff1f, v10, 32
	v_mov_b32_e32 v13, v12
	v_readfirstlane_b32 s7, v4
	v_dual_mov_b32 v19, s15 :: v_dual_mov_b32 v16, s12
	v_add_co_ci_u32_e32 v4, vcc_lo, 0, v4, vcc_lo
	v_dual_mov_b32 v18, s14 :: v_dual_mov_b32 v17, s13
	s_clause 0x3
	global_store_b128 v39, v[10:13], s[6:7]
	global_store_b128 v39, v[16:19], s[6:7] offset:16
	global_store_b128 v39, v[16:19], s[6:7] offset:32
	;; [unrolled: 1-line block ×3, first 2 shown]
	s_and_saveexec_b32 s1, s0
	s_cbranch_execz .LBB1_240
; %bb.233:
	v_dual_mov_b32 v5, 0 :: v_dual_mov_b32 v16, s4
	v_mov_b32_e32 v17, s5
	s_clause 0x1
	global_load_b64 v[18:19], v5, s[2:3] offset:32 glc
	global_load_b64 v[10:11], v5, s[2:3] offset:40
	s_waitcnt vmcnt(0)
	v_readfirstlane_b32 s6, v10
	v_readfirstlane_b32 s7, v11
	s_delay_alu instid0(VALU_DEP_1) | instskip(NEXT) | instid1(SALU_CYCLE_1)
	s_and_b64 s[6:7], s[6:7], s[4:5]
	s_mul_i32 s7, s7, 24
	s_mul_hi_u32 s10, s6, 24
	s_mul_i32 s6, s6, 24
	s_add_i32 s10, s10, s7
	v_add_co_u32 v14, vcc_lo, v14, s6
	v_add_co_ci_u32_e32 v15, vcc_lo, s10, v15, vcc_lo
	s_mov_b32 s6, exec_lo
	global_store_b64 v[14:15], v[18:19], off
	s_waitcnt_vscnt null, 0x0
	global_atomic_cmpswap_b64 v[12:13], v5, v[16:19], s[2:3] offset:32 glc
	s_waitcnt vmcnt(0)
	v_cmpx_ne_u64_e64 v[12:13], v[18:19]
	s_cbranch_execz .LBB1_236
; %bb.234:
	s_mov_b32 s7, 0
.LBB1_235:                              ; =>This Inner Loop Header: Depth=1
	v_dual_mov_b32 v10, s4 :: v_dual_mov_b32 v11, s5
	s_sleep 1
	global_store_b64 v[14:15], v[12:13], off
	s_waitcnt_vscnt null, 0x0
	global_atomic_cmpswap_b64 v[10:11], v5, v[10:13], s[2:3] offset:32 glc
	s_waitcnt vmcnt(0)
	v_cmp_eq_u64_e32 vcc_lo, v[10:11], v[12:13]
	v_dual_mov_b32 v13, v11 :: v_dual_mov_b32 v12, v10
	s_or_b32 s7, vcc_lo, s7
	s_delay_alu instid0(SALU_CYCLE_1)
	s_and_not1_b32 exec_lo, exec_lo, s7
	s_cbranch_execnz .LBB1_235
.LBB1_236:
	s_or_b32 exec_lo, exec_lo, s6
	v_mov_b32_e32 v13, 0
	s_mov_b32 s7, exec_lo
	s_mov_b32 s6, exec_lo
	v_mbcnt_lo_u32_b32 v5, s7, 0
	global_load_b64 v[10:11], v13, s[2:3] offset:16
	v_cmpx_eq_u32_e32 0, v5
	s_cbranch_execz .LBB1_238
; %bb.237:
	s_bcnt1_i32_b32 s7, s7
	s_delay_alu instid0(SALU_CYCLE_1)
	v_mov_b32_e32 v12, s7
	s_waitcnt vmcnt(0)
	global_atomic_add_u64 v[10:11], v[12:13], off offset:8
.LBB1_238:
	s_or_b32 exec_lo, exec_lo, s6
	s_waitcnt vmcnt(0)
	global_load_b64 v[12:13], v[10:11], off offset:16
	s_waitcnt vmcnt(0)
	v_cmp_eq_u64_e32 vcc_lo, 0, v[12:13]
	s_cbranch_vccnz .LBB1_240
; %bb.239:
	global_load_b32 v10, v[10:11], off offset:24
	v_mov_b32_e32 v11, 0
	s_waitcnt vmcnt(0)
	v_and_b32_e32 v5, 0xffffff, v10
	s_waitcnt_vscnt null, 0x0
	global_store_b64 v[12:13], v[10:11], off
	v_readfirstlane_b32 m0, v5
	s_sendmsg sendmsg(MSG_INTERRUPT)
.LBB1_240:
	s_or_b32 exec_lo, exec_lo, s1
	s_branch .LBB1_244
	.p2align	6
.LBB1_241:                              ;   in Loop: Header=BB1_244 Depth=1
	s_or_b32 exec_lo, exec_lo, s1
	s_delay_alu instid0(VALU_DEP_1) | instskip(NEXT) | instid1(VALU_DEP_1)
	v_readfirstlane_b32 s1, v5
	s_cmp_eq_u32 s1, 0
	s_cbranch_scc1 .LBB1_243
; %bb.242:                              ;   in Loop: Header=BB1_244 Depth=1
	s_sleep 1
	s_cbranch_execnz .LBB1_244
	s_branch .LBB1_246
	.p2align	6
.LBB1_243:
	s_branch .LBB1_246
.LBB1_244:                              ; =>This Inner Loop Header: Depth=1
	v_mov_b32_e32 v5, 1
	s_and_saveexec_b32 s1, s0
	s_cbranch_execz .LBB1_241
; %bb.245:                              ;   in Loop: Header=BB1_244 Depth=1
	global_load_b32 v5, v[0:1], off offset:20 glc
	s_waitcnt vmcnt(0)
	buffer_gl1_inv
	buffer_gl0_inv
	v_and_b32_e32 v5, 1, v5
	s_branch .LBB1_241
.LBB1_246:
	global_load_b64 v[12:13], v[3:4], off
	s_and_saveexec_b32 s1, s0
	s_cbranch_execz .LBB1_250
; %bb.247:
	v_mov_b32_e32 v3, 0
	s_clause 0x2
	global_load_b64 v[0:1], v3, s[2:3] offset:40
	global_load_b64 v[4:5], v3, s[2:3] offset:24 glc
	global_load_b64 v[10:11], v3, s[2:3]
	s_waitcnt vmcnt(2)
	v_add_co_u32 v16, vcc_lo, v0, 1
	v_add_co_ci_u32_e32 v17, vcc_lo, 0, v1, vcc_lo
	s_delay_alu instid0(VALU_DEP_2) | instskip(NEXT) | instid1(VALU_DEP_2)
	v_add_co_u32 v14, vcc_lo, v16, s4
	v_add_co_ci_u32_e32 v15, vcc_lo, s5, v17, vcc_lo
	s_delay_alu instid0(VALU_DEP_1) | instskip(SKIP_2) | instid1(VALU_DEP_1)
	v_cmp_eq_u64_e32 vcc_lo, 0, v[14:15]
	v_dual_cndmask_b32 v14, v14, v16 :: v_dual_cndmask_b32 v15, v15, v17
	s_waitcnt vmcnt(1)
	v_dual_mov_b32 v17, v5 :: v_dual_and_b32 v0, v14, v0
	s_delay_alu instid0(VALU_DEP_2) | instskip(NEXT) | instid1(VALU_DEP_2)
	v_and_b32_e32 v1, v15, v1
	v_mul_hi_u32 v16, v0, 24
	s_delay_alu instid0(VALU_DEP_2) | instskip(SKIP_1) | instid1(VALU_DEP_2)
	v_mul_lo_u32 v1, v1, 24
	v_mul_lo_u32 v0, v0, 24
	v_add_nc_u32_e32 v1, v16, v1
	v_mov_b32_e32 v16, v4
	s_waitcnt vmcnt(0)
	s_delay_alu instid0(VALU_DEP_3) | instskip(NEXT) | instid1(VALU_DEP_3)
	v_add_co_u32 v0, vcc_lo, v10, v0
	v_add_co_ci_u32_e32 v1, vcc_lo, v11, v1, vcc_lo
	global_store_b64 v[0:1], v[4:5], off
	s_waitcnt_vscnt null, 0x0
	global_atomic_cmpswap_b64 v[16:17], v3, v[14:17], s[2:3] offset:24 glc
	s_waitcnt vmcnt(0)
	v_cmp_ne_u64_e32 vcc_lo, v[16:17], v[4:5]
	s_and_b32 exec_lo, exec_lo, vcc_lo
	s_cbranch_execz .LBB1_250
; %bb.248:
	s_mov_b32 s0, 0
.LBB1_249:                              ; =>This Inner Loop Header: Depth=1
	s_sleep 1
	global_store_b64 v[0:1], v[16:17], off
	s_waitcnt_vscnt null, 0x0
	global_atomic_cmpswap_b64 v[4:5], v3, v[14:17], s[2:3] offset:24 glc
	s_waitcnt vmcnt(0)
	v_cmp_eq_u64_e32 vcc_lo, v[4:5], v[16:17]
	v_dual_mov_b32 v17, v5 :: v_dual_mov_b32 v16, v4
	s_or_b32 s0, vcc_lo, s0
	s_delay_alu instid0(SALU_CYCLE_1)
	s_and_not1_b32 exec_lo, exec_lo, s0
	s_cbranch_execnz .LBB1_249
.LBB1_250:
	s_or_b32 exec_lo, exec_lo, s1
.LBB1_251:
	v_readfirstlane_b32 s0, v48
	v_mov_b32_e32 v0, 0
	v_mov_b32_e32 v1, 0
	s_delay_alu instid0(VALU_DEP_3) | instskip(NEXT) | instid1(VALU_DEP_1)
	v_cmp_eq_u32_e64 s0, s0, v48
	s_and_saveexec_b32 s1, s0
	s_cbranch_execz .LBB1_257
; %bb.252:
	v_mov_b32_e32 v3, 0
	s_mov_b32 s4, exec_lo
	global_load_b64 v[16:17], v3, s[2:3] offset:24 glc
	s_waitcnt vmcnt(0)
	buffer_gl1_inv
	buffer_gl0_inv
	s_clause 0x1
	global_load_b64 v[0:1], v3, s[2:3] offset:40
	global_load_b64 v[4:5], v3, s[2:3]
	s_waitcnt vmcnt(1)
	v_and_b32_e32 v0, v0, v16
	v_and_b32_e32 v1, v1, v17
	s_delay_alu instid0(VALU_DEP_2) | instskip(NEXT) | instid1(VALU_DEP_2)
	v_mul_hi_u32 v10, v0, 24
	v_mul_lo_u32 v1, v1, 24
	v_mul_lo_u32 v0, v0, 24
	s_delay_alu instid0(VALU_DEP_2) | instskip(SKIP_1) | instid1(VALU_DEP_2)
	v_add_nc_u32_e32 v1, v10, v1
	s_waitcnt vmcnt(0)
	v_add_co_u32 v0, vcc_lo, v4, v0
	s_delay_alu instid0(VALU_DEP_2)
	v_add_co_ci_u32_e32 v1, vcc_lo, v5, v1, vcc_lo
	global_load_b64 v[14:15], v[0:1], off glc
	s_waitcnt vmcnt(0)
	global_atomic_cmpswap_b64 v[0:1], v3, v[14:17], s[2:3] offset:24 glc
	s_waitcnt vmcnt(0)
	buffer_gl1_inv
	buffer_gl0_inv
	v_cmpx_ne_u64_e64 v[0:1], v[16:17]
	s_cbranch_execz .LBB1_256
; %bb.253:
	s_mov_b32 s5, 0
	.p2align	6
.LBB1_254:                              ; =>This Inner Loop Header: Depth=1
	s_sleep 1
	s_clause 0x1
	global_load_b64 v[4:5], v3, s[2:3] offset:40
	global_load_b64 v[10:11], v3, s[2:3]
	v_dual_mov_b32 v17, v1 :: v_dual_mov_b32 v16, v0
	s_waitcnt vmcnt(1)
	s_delay_alu instid0(VALU_DEP_1) | instskip(SKIP_1) | instid1(VALU_DEP_1)
	v_and_b32_e32 v4, v4, v16
	s_waitcnt vmcnt(0)
	v_mad_u64_u32 v[0:1], null, v4, 24, v[10:11]
	v_and_b32_e32 v10, v5, v17
	s_delay_alu instid0(VALU_DEP_1) | instskip(NEXT) | instid1(VALU_DEP_1)
	v_mad_u64_u32 v[4:5], null, v10, 24, v[1:2]
	v_mov_b32_e32 v1, v4
	global_load_b64 v[14:15], v[0:1], off glc
	s_waitcnt vmcnt(0)
	global_atomic_cmpswap_b64 v[0:1], v3, v[14:17], s[2:3] offset:24 glc
	s_waitcnt vmcnt(0)
	buffer_gl1_inv
	buffer_gl0_inv
	v_cmp_eq_u64_e32 vcc_lo, v[0:1], v[16:17]
	s_or_b32 s5, vcc_lo, s5
	s_delay_alu instid0(SALU_CYCLE_1)
	s_and_not1_b32 exec_lo, exec_lo, s5
	s_cbranch_execnz .LBB1_254
; %bb.255:
	s_or_b32 exec_lo, exec_lo, s5
.LBB1_256:
	s_delay_alu instid0(SALU_CYCLE_1)
	s_or_b32 exec_lo, exec_lo, s4
.LBB1_257:
	s_delay_alu instid0(SALU_CYCLE_1)
	s_or_b32 exec_lo, exec_lo, s1
	s_waitcnt vmcnt(0)
	v_mov_b32_e32 v15, 0
	v_readfirstlane_b32 s4, v0
	v_readfirstlane_b32 s5, v1
	s_mov_b32 s1, exec_lo
	s_clause 0x1
	global_load_b64 v[3:4], v15, s[2:3] offset:40
	global_load_b128 v[16:19], v15, s[2:3]
	s_waitcnt vmcnt(1)
	v_readfirstlane_b32 s6, v3
	v_readfirstlane_b32 s7, v4
	s_delay_alu instid0(VALU_DEP_1) | instskip(NEXT) | instid1(SALU_CYCLE_1)
	s_and_b64 s[6:7], s[4:5], s[6:7]
	s_mul_i32 s10, s7, 24
	s_mul_hi_u32 s11, s6, 24
	s_mul_i32 s12, s6, 24
	s_add_i32 s11, s11, s10
	s_waitcnt vmcnt(0)
	v_add_co_u32 v4, vcc_lo, v16, s12
	v_add_co_ci_u32_e32 v5, vcc_lo, s11, v17, vcc_lo
	s_and_saveexec_b32 s10, s0
	s_cbranch_execz .LBB1_259
; %bb.258:
	v_dual_mov_b32 v14, s1 :: v_dual_mov_b32 v23, 1
	v_dual_mov_b32 v22, 2 :: v_dual_mov_b32 v21, v15
	s_delay_alu instid0(VALU_DEP_2)
	v_mov_b32_e32 v20, v14
	global_store_b128 v[4:5], v[20:23], off offset:8
.LBB1_259:
	s_or_b32 exec_lo, exec_lo, s10
	s_lshl_b64 s[6:7], s[6:7], 12
	s_mov_b32 s12, 0
	v_add_co_u32 v10, vcc_lo, v18, s6
	v_add_co_ci_u32_e32 v11, vcc_lo, s7, v19, vcc_lo
	s_mov_b32 s13, s12
	s_delay_alu instid0(VALU_DEP_2)
	v_readfirstlane_b32 s6, v10
	v_add_co_u32 v10, vcc_lo, v10, v39
	s_mov_b32 s14, s12
	s_mov_b32 s15, s12
	v_and_or_b32 v12, 0xffffff1f, v12, 32
	v_mov_b32_e32 v14, v2
	v_readfirstlane_b32 s7, v11
	v_dual_mov_b32 v0, s12 :: v_dual_mov_b32 v3, s15
	v_add_co_ci_u32_e32 v11, vcc_lo, 0, v11, vcc_lo
	v_dual_mov_b32 v1, s13 :: v_dual_mov_b32 v2, s14
	s_clause 0x3
	global_store_b128 v39, v[12:15], s[6:7]
	global_store_b128 v39, v[0:3], s[6:7] offset:16
	global_store_b128 v39, v[0:3], s[6:7] offset:32
	;; [unrolled: 1-line block ×3, first 2 shown]
	s_and_saveexec_b32 s1, s0
	s_cbranch_execz .LBB1_267
; %bb.260:
	v_mov_b32_e32 v14, 0
	s_clause 0x1
	global_load_b64 v[18:19], v14, s[2:3] offset:32 glc
	global_load_b64 v[0:1], v14, s[2:3] offset:40
	s_waitcnt vmcnt(0)
	v_readfirstlane_b32 s6, v0
	v_readfirstlane_b32 s7, v1
	s_delay_alu instid0(VALU_DEP_1) | instskip(NEXT) | instid1(SALU_CYCLE_1)
	s_and_b64 s[6:7], s[6:7], s[4:5]
	s_mul_i32 s7, s7, 24
	s_mul_hi_u32 s10, s6, 24
	s_mul_i32 s6, s6, 24
	s_add_i32 s10, s10, s7
	v_add_co_u32 v12, vcc_lo, v16, s6
	v_add_co_ci_u32_e32 v13, vcc_lo, s10, v17, vcc_lo
	v_dual_mov_b32 v17, s5 :: v_dual_mov_b32 v16, s4
	s_mov_b32 s6, exec_lo
	global_store_b64 v[12:13], v[18:19], off
	s_waitcnt_vscnt null, 0x0
	global_atomic_cmpswap_b64 v[2:3], v14, v[16:19], s[2:3] offset:32 glc
	s_waitcnt vmcnt(0)
	v_cmpx_ne_u64_e64 v[2:3], v[18:19]
	s_cbranch_execz .LBB1_263
; %bb.261:
	s_mov_b32 s7, 0
.LBB1_262:                              ; =>This Inner Loop Header: Depth=1
	v_dual_mov_b32 v0, s4 :: v_dual_mov_b32 v1, s5
	s_sleep 1
	global_store_b64 v[12:13], v[2:3], off
	s_waitcnt_vscnt null, 0x0
	global_atomic_cmpswap_b64 v[0:1], v14, v[0:3], s[2:3] offset:32 glc
	s_waitcnt vmcnt(0)
	v_cmp_eq_u64_e32 vcc_lo, v[0:1], v[2:3]
	v_dual_mov_b32 v3, v1 :: v_dual_mov_b32 v2, v0
	s_or_b32 s7, vcc_lo, s7
	s_delay_alu instid0(SALU_CYCLE_1)
	s_and_not1_b32 exec_lo, exec_lo, s7
	s_cbranch_execnz .LBB1_262
.LBB1_263:
	s_or_b32 exec_lo, exec_lo, s6
	v_mov_b32_e32 v3, 0
	s_mov_b32 s7, exec_lo
	s_mov_b32 s6, exec_lo
	v_mbcnt_lo_u32_b32 v2, s7, 0
	global_load_b64 v[0:1], v3, s[2:3] offset:16
	v_cmpx_eq_u32_e32 0, v2
	s_cbranch_execz .LBB1_265
; %bb.264:
	s_bcnt1_i32_b32 s7, s7
	s_delay_alu instid0(SALU_CYCLE_1)
	v_mov_b32_e32 v2, s7
	s_waitcnt vmcnt(0)
	global_atomic_add_u64 v[0:1], v[2:3], off offset:8
.LBB1_265:
	s_or_b32 exec_lo, exec_lo, s6
	s_waitcnt vmcnt(0)
	global_load_b64 v[2:3], v[0:1], off offset:16
	s_waitcnt vmcnt(0)
	v_cmp_eq_u64_e32 vcc_lo, 0, v[2:3]
	s_cbranch_vccnz .LBB1_267
; %bb.266:
	global_load_b32 v0, v[0:1], off offset:24
	s_waitcnt vmcnt(0)
	v_dual_mov_b32 v1, 0 :: v_dual_and_b32 v12, 0xffffff, v0
	s_waitcnt_vscnt null, 0x0
	global_store_b64 v[2:3], v[0:1], off
	v_readfirstlane_b32 m0, v12
	s_sendmsg sendmsg(MSG_INTERRUPT)
.LBB1_267:
	s_or_b32 exec_lo, exec_lo, s1
	s_branch .LBB1_271
	.p2align	6
.LBB1_268:                              ;   in Loop: Header=BB1_271 Depth=1
	s_or_b32 exec_lo, exec_lo, s1
	s_delay_alu instid0(VALU_DEP_1) | instskip(NEXT) | instid1(VALU_DEP_1)
	v_readfirstlane_b32 s1, v0
	s_cmp_eq_u32 s1, 0
	s_cbranch_scc1 .LBB1_270
; %bb.269:                              ;   in Loop: Header=BB1_271 Depth=1
	s_sleep 1
	s_cbranch_execnz .LBB1_271
	s_branch .LBB1_273
	.p2align	6
.LBB1_270:
	s_branch .LBB1_273
.LBB1_271:                              ; =>This Inner Loop Header: Depth=1
	v_mov_b32_e32 v0, 1
	s_and_saveexec_b32 s1, s0
	s_cbranch_execz .LBB1_268
; %bb.272:                              ;   in Loop: Header=BB1_271 Depth=1
	global_load_b32 v0, v[4:5], off offset:20 glc
	s_waitcnt vmcnt(0)
	buffer_gl1_inv
	buffer_gl0_inv
	v_and_b32_e32 v0, 1, v0
	s_branch .LBB1_268
.LBB1_273:
	global_load_b64 v[0:1], v[10:11], off
	s_and_saveexec_b32 s1, s0
	s_cbranch_execz .LBB1_277
; %bb.274:
	v_mov_b32_e32 v12, 0
	s_clause 0x2
	global_load_b64 v[4:5], v12, s[2:3] offset:40
	global_load_b64 v[13:14], v12, s[2:3] offset:24 glc
	global_load_b64 v[10:11], v12, s[2:3]
	s_waitcnt vmcnt(2)
	v_add_co_u32 v15, vcc_lo, v4, 1
	v_add_co_ci_u32_e32 v16, vcc_lo, 0, v5, vcc_lo
	s_delay_alu instid0(VALU_DEP_2) | instskip(NEXT) | instid1(VALU_DEP_2)
	v_add_co_u32 v2, vcc_lo, v15, s4
	v_add_co_ci_u32_e32 v3, vcc_lo, s5, v16, vcc_lo
	s_delay_alu instid0(VALU_DEP_1) | instskip(SKIP_1) | instid1(VALU_DEP_1)
	v_cmp_eq_u64_e32 vcc_lo, 0, v[2:3]
	v_dual_cndmask_b32 v3, v3, v16 :: v_dual_cndmask_b32 v2, v2, v15
	v_and_b32_e32 v5, v3, v5
	s_delay_alu instid0(VALU_DEP_2) | instskip(NEXT) | instid1(VALU_DEP_2)
	v_and_b32_e32 v4, v2, v4
	v_mul_lo_u32 v5, v5, 24
	s_delay_alu instid0(VALU_DEP_2) | instskip(SKIP_1) | instid1(VALU_DEP_2)
	v_mul_hi_u32 v15, v4, 24
	v_mul_lo_u32 v4, v4, 24
	v_add_nc_u32_e32 v5, v15, v5
	s_waitcnt vmcnt(0)
	s_delay_alu instid0(VALU_DEP_2) | instskip(SKIP_1) | instid1(VALU_DEP_3)
	v_add_co_u32 v10, vcc_lo, v10, v4
	v_mov_b32_e32 v4, v13
	v_add_co_ci_u32_e32 v11, vcc_lo, v11, v5, vcc_lo
	v_mov_b32_e32 v5, v14
	global_store_b64 v[10:11], v[13:14], off
	s_waitcnt_vscnt null, 0x0
	global_atomic_cmpswap_b64 v[4:5], v12, v[2:5], s[2:3] offset:24 glc
	s_waitcnt vmcnt(0)
	v_cmp_ne_u64_e32 vcc_lo, v[4:5], v[13:14]
	s_and_b32 exec_lo, exec_lo, vcc_lo
	s_cbranch_execz .LBB1_277
; %bb.275:
	s_mov_b32 s0, 0
.LBB1_276:                              ; =>This Inner Loop Header: Depth=1
	s_sleep 1
	global_store_b64 v[10:11], v[4:5], off
	s_waitcnt_vscnt null, 0x0
	global_atomic_cmpswap_b64 v[13:14], v12, v[2:5], s[2:3] offset:24 glc
	s_waitcnt vmcnt(0)
	v_cmp_eq_u64_e32 vcc_lo, v[13:14], v[4:5]
	v_dual_mov_b32 v4, v13 :: v_dual_mov_b32 v5, v14
	s_or_b32 s0, vcc_lo, s0
	s_delay_alu instid0(SALU_CYCLE_1)
	s_and_not1_b32 exec_lo, exec_lo, s0
	s_cbranch_execnz .LBB1_276
.LBB1_277:
	s_or_b32 exec_lo, exec_lo, s1
	v_dual_mov_b32 v3, v6 :: v_dual_mov_b32 v4, v7
	s_mov_b32 s0, 0
.LBB1_278:                              ; =>This Inner Loop Header: Depth=1
	flat_load_u8 v5, v[3:4]
	v_add_co_u32 v2, vcc_lo, v3, 1
	v_add_co_ci_u32_e32 v3, vcc_lo, 0, v4, vcc_lo
	s_delay_alu instid0(VALU_DEP_1) | instskip(NEXT) | instid1(VALU_DEP_3)
	v_mov_b32_e32 v4, v3
	v_mov_b32_e32 v3, v2
	s_waitcnt vmcnt(0) lgkmcnt(0)
	v_cmp_eq_u16_e32 vcc_lo, 0, v5
	s_or_b32 s0, vcc_lo, s0
	s_delay_alu instid0(SALU_CYCLE_1)
	s_and_not1_b32 exec_lo, exec_lo, s0
	s_cbranch_execnz .LBB1_278
; %bb.279:
	s_or_b32 exec_lo, exec_lo, s0
	s_delay_alu instid0(SALU_CYCLE_1)
	s_mov_b32 s0, exec_lo
	v_cmpx_ne_u64_e32 0, v[6:7]
	s_xor_b32 s10, exec_lo, s0
	s_cbranch_execz .LBB1_365
; %bb.280:
	v_sub_nc_u32_e32 v30, v2, v6
	v_dual_mov_b32 v11, 0 :: v_dual_and_b32 v34, 2, v0
	v_dual_mov_b32 v13, 1 :: v_dual_and_b32 v0, -3, v0
	v_mov_b32_e32 v12, 2
	s_delay_alu instid0(VALU_DEP_4)
	v_ashrrev_i32_e32 v31, 31, v30
	s_mov_b32 s12, 0
	s_mov_b32 s11, 0
	s_branch .LBB1_282
.LBB1_281:                              ;   in Loop: Header=BB1_282 Depth=1
	s_or_b32 exec_lo, exec_lo, s1
	v_sub_co_u32 v30, vcc_lo, v30, v32
	v_sub_co_ci_u32_e32 v31, vcc_lo, v31, v33, vcc_lo
	v_add_co_u32 v6, s0, v6, v32
	s_delay_alu instid0(VALU_DEP_1) | instskip(NEXT) | instid1(VALU_DEP_3)
	v_add_co_ci_u32_e64 v7, s0, v7, v33, s0
	v_cmp_eq_u64_e32 vcc_lo, 0, v[30:31]
	s_or_b32 s11, vcc_lo, s11
	s_delay_alu instid0(SALU_CYCLE_1)
	s_and_not1_b32 exec_lo, exec_lo, s11
	s_cbranch_execz .LBB1_364
.LBB1_282:                              ; =>This Loop Header: Depth=1
                                        ;     Child Loop BB1_285 Depth 2
                                        ;     Child Loop BB1_293 Depth 2
	;; [unrolled: 1-line block ×11, first 2 shown]
	s_delay_alu instid0(VALU_DEP_1)
	v_cmp_gt_u64_e32 vcc_lo, 56, v[30:31]
	s_mov_b32 s1, exec_lo
                                        ; implicit-def: $vgpr2_vgpr3
                                        ; implicit-def: $sgpr4
	v_dual_cndmask_b32 v33, 0, v31 :: v_dual_cndmask_b32 v32, 56, v30
	v_cmpx_gt_u64_e32 8, v[30:31]
	s_xor_b32 s1, exec_lo, s1
	s_cbranch_execz .LBB1_288
; %bb.283:                              ;   in Loop: Header=BB1_282 Depth=1
	s_waitcnt vmcnt(0)
	v_mov_b32_e32 v2, 0
	v_mov_b32_e32 v3, 0
	s_mov_b64 s[4:5], 0
	s_mov_b32 s6, exec_lo
	v_cmpx_ne_u64_e32 0, v[30:31]
	s_cbranch_execz .LBB1_287
; %bb.284:                              ;   in Loop: Header=BB1_282 Depth=1
	v_lshlrev_b64 v[4:5], 3, v[32:33]
	v_dual_mov_b32 v2, 0 :: v_dual_mov_b32 v15, v7
	v_dual_mov_b32 v3, 0 :: v_dual_mov_b32 v14, v6
	s_mov_b32 s7, 0
	.p2align	6
.LBB1_285:                              ;   Parent Loop BB1_282 Depth=1
                                        ; =>  This Inner Loop Header: Depth=2
	flat_load_u8 v5, v[14:15]
	v_mov_b32_e32 v17, s12
	v_add_co_u32 v14, vcc_lo, v14, 1
	v_add_co_ci_u32_e32 v15, vcc_lo, 0, v15, vcc_lo
	s_waitcnt vmcnt(0) lgkmcnt(0)
	v_and_b32_e32 v16, 0xffff, v5
	s_delay_alu instid0(VALU_DEP_1) | instskip(SKIP_3) | instid1(VALU_DEP_2)
	v_lshlrev_b64 v[16:17], s4, v[16:17]
	s_add_u32 s4, s4, 8
	s_addc_u32 s5, s5, 0
	v_cmp_eq_u32_e64 s0, s4, v4
	v_or_b32_e32 v3, v17, v3
	s_delay_alu instid0(VALU_DEP_3) | instskip(NEXT) | instid1(VALU_DEP_3)
	v_or_b32_e32 v2, v16, v2
	s_or_b32 s7, s0, s7
	s_delay_alu instid0(SALU_CYCLE_1)
	s_and_not1_b32 exec_lo, exec_lo, s7
	s_cbranch_execnz .LBB1_285
; %bb.286:                              ;   in Loop: Header=BB1_282 Depth=1
	s_or_b32 exec_lo, exec_lo, s7
.LBB1_287:                              ;   in Loop: Header=BB1_282 Depth=1
	s_delay_alu instid0(SALU_CYCLE_1)
	s_or_b32 exec_lo, exec_lo, s6
	s_mov_b32 s4, 0
.LBB1_288:                              ;   in Loop: Header=BB1_282 Depth=1
	s_or_saveexec_b32 s0, s1
	v_mov_b32_e32 v4, v6
	v_dual_mov_b32 v10, s4 :: v_dual_mov_b32 v5, v7
	s_xor_b32 exec_lo, exec_lo, s0
	s_cbranch_execz .LBB1_290
; %bb.289:                              ;   in Loop: Header=BB1_282 Depth=1
	s_waitcnt vmcnt(0)
	flat_load_b64 v[2:3], v[6:7]
	v_add_nc_u32_e32 v10, -8, v32
	s_waitcnt vmcnt(0) lgkmcnt(0)
	v_and_b32_e32 v4, 0xff, v3
	v_and_b32_e32 v5, 0xff00, v3
	;; [unrolled: 1-line block ×4, first 2 shown]
	v_or3_b32 v2, v2, 0, 0
	s_delay_alu instid0(VALU_DEP_4) | instskip(NEXT) | instid1(VALU_DEP_1)
	v_or_b32_e32 v4, v4, v5
	v_or3_b32 v3, v4, v14, v3
	v_add_co_u32 v4, vcc_lo, v6, 8
	v_add_co_ci_u32_e32 v5, vcc_lo, 0, v7, vcc_lo
.LBB1_290:                              ;   in Loop: Header=BB1_282 Depth=1
	s_or_b32 exec_lo, exec_lo, s0
                                        ; implicit-def: $vgpr14_vgpr15
                                        ; implicit-def: $sgpr1
	s_delay_alu instid0(SALU_CYCLE_1)
	s_mov_b32 s0, exec_lo
	v_cmpx_gt_u32_e32 8, v10
	s_xor_b32 s6, exec_lo, s0
	s_cbranch_execz .LBB1_296
; %bb.291:                              ;   in Loop: Header=BB1_282 Depth=1
	v_mov_b32_e32 v14, 0
	v_mov_b32_e32 v15, 0
	s_mov_b32 s7, exec_lo
	v_cmpx_ne_u32_e32 0, v10
	s_cbranch_execz .LBB1_295
; %bb.292:                              ;   in Loop: Header=BB1_282 Depth=1
	v_mov_b32_e32 v14, 0
	v_mov_b32_e32 v15, 0
	s_mov_b64 s[0:1], 0
	s_mov_b32 s13, 0
	s_mov_b64 s[4:5], 0
	.p2align	6
.LBB1_293:                              ;   Parent Loop BB1_282 Depth=1
                                        ; =>  This Inner Loop Header: Depth=2
	s_delay_alu instid0(SALU_CYCLE_1)
	v_add_co_u32 v16, vcc_lo, v4, s4
	v_add_co_ci_u32_e32 v17, vcc_lo, s5, v5, vcc_lo
	s_add_u32 s4, s4, 1
	s_addc_u32 s5, s5, 0
	v_cmp_eq_u32_e32 vcc_lo, s4, v10
	flat_load_u8 v16, v[16:17]
	s_waitcnt vmcnt(0) lgkmcnt(0)
	v_dual_mov_b32 v17, s12 :: v_dual_and_b32 v16, 0xffff, v16
	s_delay_alu instid0(VALU_DEP_1) | instskip(SKIP_3) | instid1(VALU_DEP_1)
	v_lshlrev_b64 v[16:17], s0, v[16:17]
	s_add_u32 s0, s0, 8
	s_addc_u32 s1, s1, 0
	s_or_b32 s13, vcc_lo, s13
	v_or_b32_e32 v15, v17, v15
	s_delay_alu instid0(VALU_DEP_2)
	v_or_b32_e32 v14, v16, v14
	s_and_not1_b32 exec_lo, exec_lo, s13
	s_cbranch_execnz .LBB1_293
; %bb.294:                              ;   in Loop: Header=BB1_282 Depth=1
	s_or_b32 exec_lo, exec_lo, s13
.LBB1_295:                              ;   in Loop: Header=BB1_282 Depth=1
	s_delay_alu instid0(SALU_CYCLE_1)
	s_or_b32 exec_lo, exec_lo, s7
	s_mov_b32 s1, 0
                                        ; implicit-def: $vgpr10
.LBB1_296:                              ;   in Loop: Header=BB1_282 Depth=1
	s_or_saveexec_b32 s0, s6
	v_mov_b32_e32 v18, s1
	s_xor_b32 exec_lo, exec_lo, s0
	s_cbranch_execz .LBB1_298
; %bb.297:                              ;   in Loop: Header=BB1_282 Depth=1
	flat_load_b64 v[14:15], v[4:5]
	v_add_co_u32 v4, vcc_lo, v4, 8
	v_add_nc_u32_e32 v18, -8, v10
	v_add_co_ci_u32_e32 v5, vcc_lo, 0, v5, vcc_lo
	s_waitcnt vmcnt(0) lgkmcnt(0)
	v_and_b32_e32 v16, 0xff, v15
	v_and_b32_e32 v17, 0xff00, v15
	;; [unrolled: 1-line block ×4, first 2 shown]
	v_or3_b32 v14, v14, 0, 0
	s_delay_alu instid0(VALU_DEP_4) | instskip(NEXT) | instid1(VALU_DEP_1)
	v_or_b32_e32 v16, v16, v17
	v_or3_b32 v15, v16, v19, v15
.LBB1_298:                              ;   in Loop: Header=BB1_282 Depth=1
	s_or_b32 exec_lo, exec_lo, s0
                                        ; implicit-def: $sgpr1
	s_delay_alu instid0(SALU_CYCLE_1)
	s_mov_b32 s0, exec_lo
	v_cmpx_gt_u32_e32 8, v18
	s_xor_b32 s6, exec_lo, s0
	s_cbranch_execz .LBB1_304
; %bb.299:                              ;   in Loop: Header=BB1_282 Depth=1
	v_mov_b32_e32 v16, 0
	v_mov_b32_e32 v17, 0
	s_mov_b32 s7, exec_lo
	v_cmpx_ne_u32_e32 0, v18
	s_cbranch_execz .LBB1_303
; %bb.300:                              ;   in Loop: Header=BB1_282 Depth=1
	v_mov_b32_e32 v16, 0
	v_mov_b32_e32 v17, 0
	s_mov_b64 s[0:1], 0
	s_mov_b32 s13, 0
	s_mov_b64 s[4:5], 0
	.p2align	6
.LBB1_301:                              ;   Parent Loop BB1_282 Depth=1
                                        ; =>  This Inner Loop Header: Depth=2
	s_delay_alu instid0(SALU_CYCLE_1)
	v_add_co_u32 v19, vcc_lo, v4, s4
	v_add_co_ci_u32_e32 v20, vcc_lo, s5, v5, vcc_lo
	s_add_u32 s4, s4, 1
	s_addc_u32 s5, s5, 0
	v_cmp_eq_u32_e32 vcc_lo, s4, v18
	flat_load_u8 v10, v[19:20]
	s_waitcnt vmcnt(0) lgkmcnt(0)
	v_dual_mov_b32 v20, s12 :: v_dual_and_b32 v19, 0xffff, v10
	s_delay_alu instid0(VALU_DEP_1) | instskip(SKIP_3) | instid1(VALU_DEP_1)
	v_lshlrev_b64 v[19:20], s0, v[19:20]
	s_add_u32 s0, s0, 8
	s_addc_u32 s1, s1, 0
	s_or_b32 s13, vcc_lo, s13
	v_or_b32_e32 v17, v20, v17
	s_delay_alu instid0(VALU_DEP_2)
	v_or_b32_e32 v16, v19, v16
	s_and_not1_b32 exec_lo, exec_lo, s13
	s_cbranch_execnz .LBB1_301
; %bb.302:                              ;   in Loop: Header=BB1_282 Depth=1
	s_or_b32 exec_lo, exec_lo, s13
.LBB1_303:                              ;   in Loop: Header=BB1_282 Depth=1
	s_delay_alu instid0(SALU_CYCLE_1)
	s_or_b32 exec_lo, exec_lo, s7
	s_mov_b32 s1, 0
                                        ; implicit-def: $vgpr18
.LBB1_304:                              ;   in Loop: Header=BB1_282 Depth=1
	s_or_saveexec_b32 s0, s6
	v_mov_b32_e32 v10, s1
	s_xor_b32 exec_lo, exec_lo, s0
	s_cbranch_execz .LBB1_306
; %bb.305:                              ;   in Loop: Header=BB1_282 Depth=1
	flat_load_b64 v[16:17], v[4:5]
	v_add_co_u32 v4, vcc_lo, v4, 8
	v_add_co_ci_u32_e32 v5, vcc_lo, 0, v5, vcc_lo
	s_waitcnt vmcnt(0) lgkmcnt(0)
	v_and_b32_e32 v10, 0xff, v17
	v_and_b32_e32 v19, 0xff00, v17
	v_and_b32_e32 v20, 0xff0000, v17
	v_and_b32_e32 v17, 0xff000000, v17
	v_or3_b32 v16, v16, 0, 0
	s_delay_alu instid0(VALU_DEP_4) | instskip(SKIP_1) | instid1(VALU_DEP_2)
	v_or_b32_e32 v19, v10, v19
	v_add_nc_u32_e32 v10, -8, v18
	v_or3_b32 v17, v19, v20, v17
.LBB1_306:                              ;   in Loop: Header=BB1_282 Depth=1
	s_or_b32 exec_lo, exec_lo, s0
                                        ; implicit-def: $vgpr18_vgpr19
                                        ; implicit-def: $sgpr1
	s_delay_alu instid0(SALU_CYCLE_1) | instskip(NEXT) | instid1(VALU_DEP_1)
	s_mov_b32 s0, exec_lo
	v_cmpx_gt_u32_e32 8, v10
	s_xor_b32 s6, exec_lo, s0
	s_cbranch_execz .LBB1_312
; %bb.307:                              ;   in Loop: Header=BB1_282 Depth=1
	v_mov_b32_e32 v18, 0
	v_mov_b32_e32 v19, 0
	s_mov_b32 s7, exec_lo
	v_cmpx_ne_u32_e32 0, v10
	s_cbranch_execz .LBB1_311
; %bb.308:                              ;   in Loop: Header=BB1_282 Depth=1
	v_mov_b32_e32 v18, 0
	v_mov_b32_e32 v19, 0
	s_mov_b64 s[0:1], 0
	s_mov_b32 s13, 0
	s_mov_b64 s[4:5], 0
	.p2align	6
.LBB1_309:                              ;   Parent Loop BB1_282 Depth=1
                                        ; =>  This Inner Loop Header: Depth=2
	s_delay_alu instid0(SALU_CYCLE_1)
	v_add_co_u32 v20, vcc_lo, v4, s4
	v_add_co_ci_u32_e32 v21, vcc_lo, s5, v5, vcc_lo
	s_add_u32 s4, s4, 1
	s_addc_u32 s5, s5, 0
	v_cmp_eq_u32_e32 vcc_lo, s4, v10
	flat_load_u8 v20, v[20:21]
	s_waitcnt vmcnt(0) lgkmcnt(0)
	v_dual_mov_b32 v21, s12 :: v_dual_and_b32 v20, 0xffff, v20
	s_delay_alu instid0(VALU_DEP_1) | instskip(SKIP_3) | instid1(VALU_DEP_1)
	v_lshlrev_b64 v[20:21], s0, v[20:21]
	s_add_u32 s0, s0, 8
	s_addc_u32 s1, s1, 0
	s_or_b32 s13, vcc_lo, s13
	v_or_b32_e32 v19, v21, v19
	s_delay_alu instid0(VALU_DEP_2)
	v_or_b32_e32 v18, v20, v18
	s_and_not1_b32 exec_lo, exec_lo, s13
	s_cbranch_execnz .LBB1_309
; %bb.310:                              ;   in Loop: Header=BB1_282 Depth=1
	s_or_b32 exec_lo, exec_lo, s13
.LBB1_311:                              ;   in Loop: Header=BB1_282 Depth=1
	s_delay_alu instid0(SALU_CYCLE_1)
	s_or_b32 exec_lo, exec_lo, s7
	s_mov_b32 s1, 0
                                        ; implicit-def: $vgpr10
.LBB1_312:                              ;   in Loop: Header=BB1_282 Depth=1
	s_or_saveexec_b32 s0, s6
	v_mov_b32_e32 v22, s1
	s_xor_b32 exec_lo, exec_lo, s0
	s_cbranch_execz .LBB1_314
; %bb.313:                              ;   in Loop: Header=BB1_282 Depth=1
	flat_load_b64 v[18:19], v[4:5]
	v_add_co_u32 v4, vcc_lo, v4, 8
	v_add_nc_u32_e32 v22, -8, v10
	v_add_co_ci_u32_e32 v5, vcc_lo, 0, v5, vcc_lo
	s_waitcnt vmcnt(0) lgkmcnt(0)
	v_and_b32_e32 v20, 0xff, v19
	v_and_b32_e32 v21, 0xff00, v19
	;; [unrolled: 1-line block ×4, first 2 shown]
	v_or3_b32 v18, v18, 0, 0
	s_delay_alu instid0(VALU_DEP_4) | instskip(NEXT) | instid1(VALU_DEP_1)
	v_or_b32_e32 v20, v20, v21
	v_or3_b32 v19, v20, v23, v19
.LBB1_314:                              ;   in Loop: Header=BB1_282 Depth=1
	s_or_b32 exec_lo, exec_lo, s0
                                        ; implicit-def: $sgpr1
	s_delay_alu instid0(SALU_CYCLE_1)
	s_mov_b32 s0, exec_lo
	v_cmpx_gt_u32_e32 8, v22
	s_xor_b32 s6, exec_lo, s0
	s_cbranch_execz .LBB1_320
; %bb.315:                              ;   in Loop: Header=BB1_282 Depth=1
	v_mov_b32_e32 v20, 0
	v_mov_b32_e32 v21, 0
	s_mov_b32 s7, exec_lo
	v_cmpx_ne_u32_e32 0, v22
	s_cbranch_execz .LBB1_319
; %bb.316:                              ;   in Loop: Header=BB1_282 Depth=1
	v_mov_b32_e32 v20, 0
	v_mov_b32_e32 v21, 0
	s_mov_b64 s[0:1], 0
	s_mov_b32 s13, 0
	s_mov_b64 s[4:5], 0
	.p2align	6
.LBB1_317:                              ;   Parent Loop BB1_282 Depth=1
                                        ; =>  This Inner Loop Header: Depth=2
	s_delay_alu instid0(SALU_CYCLE_1)
	v_add_co_u32 v23, vcc_lo, v4, s4
	v_add_co_ci_u32_e32 v24, vcc_lo, s5, v5, vcc_lo
	s_add_u32 s4, s4, 1
	s_addc_u32 s5, s5, 0
	v_cmp_eq_u32_e32 vcc_lo, s4, v22
	flat_load_u8 v10, v[23:24]
	s_waitcnt vmcnt(0) lgkmcnt(0)
	v_dual_mov_b32 v24, s12 :: v_dual_and_b32 v23, 0xffff, v10
	s_delay_alu instid0(VALU_DEP_1) | instskip(SKIP_3) | instid1(VALU_DEP_1)
	v_lshlrev_b64 v[23:24], s0, v[23:24]
	s_add_u32 s0, s0, 8
	s_addc_u32 s1, s1, 0
	s_or_b32 s13, vcc_lo, s13
	v_or_b32_e32 v21, v24, v21
	s_delay_alu instid0(VALU_DEP_2)
	v_or_b32_e32 v20, v23, v20
	s_and_not1_b32 exec_lo, exec_lo, s13
	s_cbranch_execnz .LBB1_317
; %bb.318:                              ;   in Loop: Header=BB1_282 Depth=1
	s_or_b32 exec_lo, exec_lo, s13
.LBB1_319:                              ;   in Loop: Header=BB1_282 Depth=1
	s_delay_alu instid0(SALU_CYCLE_1)
	s_or_b32 exec_lo, exec_lo, s7
	s_mov_b32 s1, 0
                                        ; implicit-def: $vgpr22
.LBB1_320:                              ;   in Loop: Header=BB1_282 Depth=1
	s_or_saveexec_b32 s0, s6
	v_mov_b32_e32 v10, s1
	s_xor_b32 exec_lo, exec_lo, s0
	s_cbranch_execz .LBB1_322
; %bb.321:                              ;   in Loop: Header=BB1_282 Depth=1
	flat_load_b64 v[20:21], v[4:5]
	v_add_co_u32 v4, vcc_lo, v4, 8
	v_add_co_ci_u32_e32 v5, vcc_lo, 0, v5, vcc_lo
	s_waitcnt vmcnt(0) lgkmcnt(0)
	v_and_b32_e32 v10, 0xff, v21
	v_and_b32_e32 v23, 0xff00, v21
	;; [unrolled: 1-line block ×4, first 2 shown]
	v_or3_b32 v20, v20, 0, 0
	s_delay_alu instid0(VALU_DEP_4) | instskip(SKIP_1) | instid1(VALU_DEP_2)
	v_or_b32_e32 v23, v10, v23
	v_add_nc_u32_e32 v10, -8, v22
	v_or3_b32 v21, v23, v24, v21
.LBB1_322:                              ;   in Loop: Header=BB1_282 Depth=1
	s_or_b32 exec_lo, exec_lo, s0
                                        ; implicit-def: $vgpr22_vgpr23
                                        ; implicit-def: $sgpr1
	s_delay_alu instid0(SALU_CYCLE_1) | instskip(NEXT) | instid1(VALU_DEP_1)
	s_mov_b32 s0, exec_lo
	v_cmpx_gt_u32_e32 8, v10
	s_xor_b32 s6, exec_lo, s0
	s_cbranch_execz .LBB1_328
; %bb.323:                              ;   in Loop: Header=BB1_282 Depth=1
	v_mov_b32_e32 v22, 0
	v_mov_b32_e32 v23, 0
	s_mov_b32 s7, exec_lo
	v_cmpx_ne_u32_e32 0, v10
	s_cbranch_execz .LBB1_327
; %bb.324:                              ;   in Loop: Header=BB1_282 Depth=1
	v_mov_b32_e32 v22, 0
	v_mov_b32_e32 v23, 0
	s_mov_b64 s[0:1], 0
	s_mov_b32 s13, 0
	s_mov_b64 s[4:5], 0
	.p2align	6
.LBB1_325:                              ;   Parent Loop BB1_282 Depth=1
                                        ; =>  This Inner Loop Header: Depth=2
	s_delay_alu instid0(SALU_CYCLE_1)
	v_add_co_u32 v24, vcc_lo, v4, s4
	v_add_co_ci_u32_e32 v25, vcc_lo, s5, v5, vcc_lo
	s_add_u32 s4, s4, 1
	s_addc_u32 s5, s5, 0
	v_cmp_eq_u32_e32 vcc_lo, s4, v10
	flat_load_u8 v24, v[24:25]
	s_waitcnt vmcnt(0) lgkmcnt(0)
	v_dual_mov_b32 v25, s12 :: v_dual_and_b32 v24, 0xffff, v24
	s_delay_alu instid0(VALU_DEP_1) | instskip(SKIP_3) | instid1(VALU_DEP_1)
	v_lshlrev_b64 v[24:25], s0, v[24:25]
	s_add_u32 s0, s0, 8
	s_addc_u32 s1, s1, 0
	s_or_b32 s13, vcc_lo, s13
	v_or_b32_e32 v23, v25, v23
	s_delay_alu instid0(VALU_DEP_2)
	v_or_b32_e32 v22, v24, v22
	s_and_not1_b32 exec_lo, exec_lo, s13
	s_cbranch_execnz .LBB1_325
; %bb.326:                              ;   in Loop: Header=BB1_282 Depth=1
	s_or_b32 exec_lo, exec_lo, s13
.LBB1_327:                              ;   in Loop: Header=BB1_282 Depth=1
	s_delay_alu instid0(SALU_CYCLE_1)
	s_or_b32 exec_lo, exec_lo, s7
	s_mov_b32 s1, 0
                                        ; implicit-def: $vgpr10
.LBB1_328:                              ;   in Loop: Header=BB1_282 Depth=1
	s_or_saveexec_b32 s0, s6
	v_mov_b32_e32 v26, s1
	s_xor_b32 exec_lo, exec_lo, s0
	s_cbranch_execz .LBB1_330
; %bb.329:                              ;   in Loop: Header=BB1_282 Depth=1
	flat_load_b64 v[22:23], v[4:5]
	v_add_co_u32 v4, vcc_lo, v4, 8
	v_add_nc_u32_e32 v26, -8, v10
	v_add_co_ci_u32_e32 v5, vcc_lo, 0, v5, vcc_lo
	s_waitcnt vmcnt(0) lgkmcnt(0)
	v_and_b32_e32 v24, 0xff, v23
	v_and_b32_e32 v25, 0xff00, v23
	;; [unrolled: 1-line block ×4, first 2 shown]
	v_or3_b32 v22, v22, 0, 0
	s_delay_alu instid0(VALU_DEP_4) | instskip(NEXT) | instid1(VALU_DEP_1)
	v_or_b32_e32 v24, v24, v25
	v_or3_b32 v23, v24, v27, v23
.LBB1_330:                              ;   in Loop: Header=BB1_282 Depth=1
	s_or_b32 exec_lo, exec_lo, s0
	s_delay_alu instid0(SALU_CYCLE_1)
	s_mov_b32 s0, exec_lo
	v_cmpx_gt_u32_e32 8, v26
	s_xor_b32 s4, exec_lo, s0
	s_cbranch_execz .LBB1_336
; %bb.331:                              ;   in Loop: Header=BB1_282 Depth=1
	v_mov_b32_e32 v24, 0
	v_mov_b32_e32 v25, 0
	s_mov_b32 s5, exec_lo
	v_cmpx_ne_u32_e32 0, v26
	s_cbranch_execz .LBB1_335
; %bb.332:                              ;   in Loop: Header=BB1_282 Depth=1
	v_mov_b32_e32 v24, 0
	v_mov_b32_e32 v25, 0
	s_mov_b64 s[0:1], 0
	s_mov_b32 s6, 0
	.p2align	6
.LBB1_333:                              ;   Parent Loop BB1_282 Depth=1
                                        ; =>  This Inner Loop Header: Depth=2
	flat_load_u8 v10, v[4:5]
	v_mov_b32_e32 v28, s12
	v_add_nc_u32_e32 v26, -1, v26
	v_add_co_u32 v4, vcc_lo, v4, 1
	v_add_co_ci_u32_e32 v5, vcc_lo, 0, v5, vcc_lo
	s_delay_alu instid0(VALU_DEP_3) | instskip(SKIP_2) | instid1(VALU_DEP_1)
	v_cmp_eq_u32_e32 vcc_lo, 0, v26
	s_waitcnt vmcnt(0) lgkmcnt(0)
	v_and_b32_e32 v27, 0xffff, v10
	v_lshlrev_b64 v[27:28], s0, v[27:28]
	s_add_u32 s0, s0, 8
	s_addc_u32 s1, s1, 0
	s_or_b32 s6, vcc_lo, s6
	s_delay_alu instid0(VALU_DEP_1) | instskip(NEXT) | instid1(VALU_DEP_2)
	v_or_b32_e32 v25, v28, v25
	v_or_b32_e32 v24, v27, v24
	s_and_not1_b32 exec_lo, exec_lo, s6
	s_cbranch_execnz .LBB1_333
; %bb.334:                              ;   in Loop: Header=BB1_282 Depth=1
	s_or_b32 exec_lo, exec_lo, s6
.LBB1_335:                              ;   in Loop: Header=BB1_282 Depth=1
	s_delay_alu instid0(SALU_CYCLE_1)
	s_or_b32 exec_lo, exec_lo, s5
                                        ; implicit-def: $vgpr4_vgpr5
.LBB1_336:                              ;   in Loop: Header=BB1_282 Depth=1
	s_and_not1_saveexec_b32 s0, s4
	s_cbranch_execz .LBB1_338
; %bb.337:                              ;   in Loop: Header=BB1_282 Depth=1
	flat_load_b64 v[4:5], v[4:5]
	s_waitcnt vmcnt(0) lgkmcnt(0)
	v_and_b32_e32 v10, 0xff, v5
	v_and_b32_e32 v24, 0xff00, v5
	;; [unrolled: 1-line block ×4, first 2 shown]
	s_delay_alu instid0(VALU_DEP_3) | instskip(SKIP_1) | instid1(VALU_DEP_2)
	v_or_b32_e32 v10, v10, v24
	v_or3_b32 v24, v4, 0, 0
	v_or3_b32 v25, v10, v25, v5
.LBB1_338:                              ;   in Loop: Header=BB1_282 Depth=1
	s_or_b32 exec_lo, exec_lo, s0
	v_readfirstlane_b32 s0, v48
	v_mov_b32_e32 v4, 0
	v_mov_b32_e32 v5, 0
	s_delay_alu instid0(VALU_DEP_3) | instskip(NEXT) | instid1(VALU_DEP_1)
	v_cmp_eq_u32_e64 s0, s0, v48
	s_and_saveexec_b32 s1, s0
	s_cbranch_execz .LBB1_344
; %bb.339:                              ;   in Loop: Header=BB1_282 Depth=1
	global_load_b64 v[28:29], v11, s[2:3] offset:24 glc
	s_waitcnt vmcnt(0)
	buffer_gl1_inv
	buffer_gl0_inv
	s_clause 0x1
	global_load_b64 v[4:5], v11, s[2:3] offset:40
	global_load_b64 v[26:27], v11, s[2:3]
	s_mov_b32 s4, exec_lo
	s_waitcnt vmcnt(1)
	v_and_b32_e32 v5, v5, v29
	v_and_b32_e32 v4, v4, v28
	s_delay_alu instid0(VALU_DEP_2) | instskip(NEXT) | instid1(VALU_DEP_2)
	v_mul_lo_u32 v5, v5, 24
	v_mul_hi_u32 v10, v4, 24
	v_mul_lo_u32 v4, v4, 24
	s_delay_alu instid0(VALU_DEP_2) | instskip(SKIP_1) | instid1(VALU_DEP_2)
	v_add_nc_u32_e32 v5, v10, v5
	s_waitcnt vmcnt(0)
	v_add_co_u32 v4, vcc_lo, v26, v4
	s_delay_alu instid0(VALU_DEP_2)
	v_add_co_ci_u32_e32 v5, vcc_lo, v27, v5, vcc_lo
	global_load_b64 v[26:27], v[4:5], off glc
	s_waitcnt vmcnt(0)
	global_atomic_cmpswap_b64 v[4:5], v11, v[26:29], s[2:3] offset:24 glc
	s_waitcnt vmcnt(0)
	buffer_gl1_inv
	buffer_gl0_inv
	v_cmpx_ne_u64_e64 v[4:5], v[28:29]
	s_cbranch_execz .LBB1_343
; %bb.340:                              ;   in Loop: Header=BB1_282 Depth=1
	s_mov_b32 s5, 0
	.p2align	6
.LBB1_341:                              ;   Parent Loop BB1_282 Depth=1
                                        ; =>  This Inner Loop Header: Depth=2
	s_sleep 1
	s_clause 0x1
	global_load_b64 v[26:27], v11, s[2:3] offset:40
	global_load_b64 v[35:36], v11, s[2:3]
	v_dual_mov_b32 v29, v5 :: v_dual_mov_b32 v28, v4
	s_waitcnt vmcnt(1)
	s_delay_alu instid0(VALU_DEP_1) | instskip(SKIP_1) | instid1(VALU_DEP_1)
	v_and_b32_e32 v10, v26, v28
	s_waitcnt vmcnt(0)
	v_mad_u64_u32 v[4:5], null, v10, 24, v[35:36]
	v_and_b32_e32 v10, v27, v29
	s_delay_alu instid0(VALU_DEP_1) | instskip(NEXT) | instid1(VALU_DEP_1)
	v_mad_u64_u32 v[26:27], null, v10, 24, v[5:6]
	v_mov_b32_e32 v5, v26
	global_load_b64 v[26:27], v[4:5], off glc
	s_waitcnt vmcnt(0)
	global_atomic_cmpswap_b64 v[4:5], v11, v[26:29], s[2:3] offset:24 glc
	s_waitcnt vmcnt(0)
	buffer_gl1_inv
	buffer_gl0_inv
	v_cmp_eq_u64_e32 vcc_lo, v[4:5], v[28:29]
	s_or_b32 s5, vcc_lo, s5
	s_delay_alu instid0(SALU_CYCLE_1)
	s_and_not1_b32 exec_lo, exec_lo, s5
	s_cbranch_execnz .LBB1_341
; %bb.342:                              ;   in Loop: Header=BB1_282 Depth=1
	s_or_b32 exec_lo, exec_lo, s5
.LBB1_343:                              ;   in Loop: Header=BB1_282 Depth=1
	s_delay_alu instid0(SALU_CYCLE_1)
	s_or_b32 exec_lo, exec_lo, s4
.LBB1_344:                              ;   in Loop: Header=BB1_282 Depth=1
	s_delay_alu instid0(SALU_CYCLE_1)
	s_or_b32 exec_lo, exec_lo, s1
	s_clause 0x1
	global_load_b64 v[35:36], v11, s[2:3] offset:40
	global_load_b128 v[26:29], v11, s[2:3]
	v_readfirstlane_b32 s4, v4
	v_readfirstlane_b32 s5, v5
	s_mov_b32 s1, exec_lo
	s_waitcnt vmcnt(1)
	v_readfirstlane_b32 s6, v35
	v_readfirstlane_b32 s7, v36
	s_delay_alu instid0(VALU_DEP_1) | instskip(NEXT) | instid1(SALU_CYCLE_1)
	s_and_b64 s[6:7], s[4:5], s[6:7]
	s_mul_i32 s13, s7, 24
	s_mul_hi_u32 s14, s6, 24
	s_mul_i32 s15, s6, 24
	s_add_i32 s14, s14, s13
	s_waitcnt vmcnt(0)
	v_add_co_u32 v4, vcc_lo, v26, s15
	v_add_co_ci_u32_e32 v5, vcc_lo, s14, v27, vcc_lo
	s_and_saveexec_b32 s13, s0
	s_cbranch_execz .LBB1_346
; %bb.345:                              ;   in Loop: Header=BB1_282 Depth=1
	v_mov_b32_e32 v10, s1
	global_store_b128 v[4:5], v[10:13], off offset:8
.LBB1_346:                              ;   in Loop: Header=BB1_282 Depth=1
	s_or_b32 exec_lo, exec_lo, s13
	v_cmp_lt_u64_e32 vcc_lo, 56, v[30:31]
	v_or_b32_e32 v10, 0, v1
	v_or_b32_e32 v35, v0, v34
	v_lshl_add_u32 v36, v32, 2, 28
	s_lshl_b64 s[6:7], s[6:7], 12
	s_delay_alu instid0(SALU_CYCLE_1) | instskip(NEXT) | instid1(VALU_DEP_1)
	v_add_co_u32 v28, s1, v28, s6
	v_add_co_ci_u32_e64 v29, s1, s7, v29, s1
	v_dual_cndmask_b32 v1, v10, v1 :: v_dual_cndmask_b32 v0, v35, v0
	v_and_b32_e32 v10, 0x1e0, v36
	s_delay_alu instid0(VALU_DEP_4) | instskip(NEXT) | instid1(VALU_DEP_4)
	v_readfirstlane_b32 s6, v28
	v_readfirstlane_b32 s7, v29
	s_delay_alu instid0(VALU_DEP_3)
	v_and_or_b32 v0, 0xffffff1f, v0, v10
	s_clause 0x3
	global_store_b128 v39, v[0:3], s[6:7]
	global_store_b128 v39, v[14:17], s[6:7] offset:16
	global_store_b128 v39, v[18:21], s[6:7] offset:32
	;; [unrolled: 1-line block ×3, first 2 shown]
	s_and_saveexec_b32 s1, s0
	s_cbranch_execz .LBB1_354
; %bb.347:                              ;   in Loop: Header=BB1_282 Depth=1
	s_clause 0x1
	global_load_b64 v[18:19], v11, s[2:3] offset:32 glc
	global_load_b64 v[0:1], v11, s[2:3] offset:40
	v_dual_mov_b32 v16, s4 :: v_dual_mov_b32 v17, s5
	s_waitcnt vmcnt(0)
	v_readfirstlane_b32 s6, v0
	v_readfirstlane_b32 s7, v1
	s_delay_alu instid0(VALU_DEP_1) | instskip(NEXT) | instid1(SALU_CYCLE_1)
	s_and_b64 s[6:7], s[6:7], s[4:5]
	s_mul_i32 s7, s7, 24
	s_mul_hi_u32 s13, s6, 24
	s_mul_i32 s6, s6, 24
	s_add_i32 s13, s13, s7
	v_add_co_u32 v14, vcc_lo, v26, s6
	v_add_co_ci_u32_e32 v15, vcc_lo, s13, v27, vcc_lo
	s_mov_b32 s6, exec_lo
	global_store_b64 v[14:15], v[18:19], off
	s_waitcnt_vscnt null, 0x0
	global_atomic_cmpswap_b64 v[2:3], v11, v[16:19], s[2:3] offset:32 glc
	s_waitcnt vmcnt(0)
	v_cmpx_ne_u64_e64 v[2:3], v[18:19]
	s_cbranch_execz .LBB1_350
; %bb.348:                              ;   in Loop: Header=BB1_282 Depth=1
	s_mov_b32 s7, 0
.LBB1_349:                              ;   Parent Loop BB1_282 Depth=1
                                        ; =>  This Inner Loop Header: Depth=2
	v_dual_mov_b32 v0, s4 :: v_dual_mov_b32 v1, s5
	s_sleep 1
	global_store_b64 v[14:15], v[2:3], off
	s_waitcnt_vscnt null, 0x0
	global_atomic_cmpswap_b64 v[0:1], v11, v[0:3], s[2:3] offset:32 glc
	s_waitcnt vmcnt(0)
	v_cmp_eq_u64_e32 vcc_lo, v[0:1], v[2:3]
	v_dual_mov_b32 v3, v1 :: v_dual_mov_b32 v2, v0
	s_or_b32 s7, vcc_lo, s7
	s_delay_alu instid0(SALU_CYCLE_1)
	s_and_not1_b32 exec_lo, exec_lo, s7
	s_cbranch_execnz .LBB1_349
.LBB1_350:                              ;   in Loop: Header=BB1_282 Depth=1
	s_or_b32 exec_lo, exec_lo, s6
	global_load_b64 v[0:1], v11, s[2:3] offset:16
	s_mov_b32 s7, exec_lo
	s_mov_b32 s6, exec_lo
	v_mbcnt_lo_u32_b32 v2, s7, 0
	s_delay_alu instid0(VALU_DEP_1)
	v_cmpx_eq_u32_e32 0, v2
	s_cbranch_execz .LBB1_352
; %bb.351:                              ;   in Loop: Header=BB1_282 Depth=1
	s_bcnt1_i32_b32 s7, s7
	s_delay_alu instid0(SALU_CYCLE_1)
	v_mov_b32_e32 v10, s7
	s_waitcnt vmcnt(0)
	global_atomic_add_u64 v[0:1], v[10:11], off offset:8
.LBB1_352:                              ;   in Loop: Header=BB1_282 Depth=1
	s_or_b32 exec_lo, exec_lo, s6
	s_waitcnt vmcnt(0)
	global_load_b64 v[2:3], v[0:1], off offset:16
	s_waitcnt vmcnt(0)
	v_cmp_eq_u64_e32 vcc_lo, 0, v[2:3]
	s_cbranch_vccnz .LBB1_354
; %bb.353:                              ;   in Loop: Header=BB1_282 Depth=1
	global_load_b32 v10, v[0:1], off offset:24
	s_waitcnt vmcnt(0)
	v_and_b32_e32 v0, 0xffffff, v10
	s_waitcnt_vscnt null, 0x0
	global_store_b64 v[2:3], v[10:11], off
	v_readfirstlane_b32 m0, v0
	s_sendmsg sendmsg(MSG_INTERRUPT)
.LBB1_354:                              ;   in Loop: Header=BB1_282 Depth=1
	s_or_b32 exec_lo, exec_lo, s1
	v_add_co_u32 v0, vcc_lo, v28, v39
	v_add_co_ci_u32_e32 v1, vcc_lo, 0, v29, vcc_lo
	s_branch .LBB1_358
	.p2align	6
.LBB1_355:                              ;   in Loop: Header=BB1_358 Depth=2
	s_or_b32 exec_lo, exec_lo, s1
	s_delay_alu instid0(VALU_DEP_1) | instskip(NEXT) | instid1(VALU_DEP_1)
	v_readfirstlane_b32 s1, v2
	s_cmp_eq_u32 s1, 0
	s_cbranch_scc1 .LBB1_357
; %bb.356:                              ;   in Loop: Header=BB1_358 Depth=2
	s_sleep 1
	s_cbranch_execnz .LBB1_358
	s_branch .LBB1_360
	.p2align	6
.LBB1_357:                              ;   in Loop: Header=BB1_282 Depth=1
	s_branch .LBB1_360
.LBB1_358:                              ;   Parent Loop BB1_282 Depth=1
                                        ; =>  This Inner Loop Header: Depth=2
	v_mov_b32_e32 v2, 1
	s_and_saveexec_b32 s1, s0
	s_cbranch_execz .LBB1_355
; %bb.359:                              ;   in Loop: Header=BB1_358 Depth=2
	global_load_b32 v2, v[4:5], off offset:20 glc
	s_waitcnt vmcnt(0)
	buffer_gl1_inv
	buffer_gl0_inv
	v_and_b32_e32 v2, 1, v2
	s_branch .LBB1_355
.LBB1_360:                              ;   in Loop: Header=BB1_282 Depth=1
	global_load_b128 v[0:3], v[0:1], off
	s_and_saveexec_b32 s1, s0
	s_cbranch_execz .LBB1_281
; %bb.361:                              ;   in Loop: Header=BB1_282 Depth=1
	s_clause 0x2
	global_load_b64 v[4:5], v11, s[2:3] offset:40
	global_load_b64 v[16:17], v11, s[2:3] offset:24 glc
	global_load_b64 v[14:15], v11, s[2:3]
	s_waitcnt vmcnt(2)
	v_add_co_u32 v10, vcc_lo, v4, 1
	v_add_co_ci_u32_e32 v18, vcc_lo, 0, v5, vcc_lo
	s_delay_alu instid0(VALU_DEP_2) | instskip(NEXT) | instid1(VALU_DEP_2)
	v_add_co_u32 v2, vcc_lo, v10, s4
	v_add_co_ci_u32_e32 v3, vcc_lo, s5, v18, vcc_lo
	s_delay_alu instid0(VALU_DEP_1) | instskip(SKIP_1) | instid1(VALU_DEP_1)
	v_cmp_eq_u64_e32 vcc_lo, 0, v[2:3]
	v_cndmask_b32_e32 v2, v2, v10, vcc_lo
	v_dual_cndmask_b32 v3, v3, v18 :: v_dual_and_b32 v4, v2, v4
	s_delay_alu instid0(VALU_DEP_1) | instskip(NEXT) | instid1(VALU_DEP_2)
	v_and_b32_e32 v5, v3, v5
	v_mul_hi_u32 v10, v4, 24
	s_delay_alu instid0(VALU_DEP_2) | instskip(SKIP_1) | instid1(VALU_DEP_2)
	v_mul_lo_u32 v5, v5, 24
	v_mul_lo_u32 v4, v4, 24
	v_add_nc_u32_e32 v5, v10, v5
	s_waitcnt vmcnt(0)
	s_delay_alu instid0(VALU_DEP_2) | instskip(SKIP_1) | instid1(VALU_DEP_3)
	v_add_co_u32 v14, vcc_lo, v14, v4
	v_mov_b32_e32 v4, v16
	v_add_co_ci_u32_e32 v15, vcc_lo, v15, v5, vcc_lo
	v_mov_b32_e32 v5, v17
	global_store_b64 v[14:15], v[16:17], off
	s_waitcnt_vscnt null, 0x0
	global_atomic_cmpswap_b64 v[4:5], v11, v[2:5], s[2:3] offset:24 glc
	s_waitcnt vmcnt(0)
	v_cmp_ne_u64_e32 vcc_lo, v[4:5], v[16:17]
	s_and_b32 exec_lo, exec_lo, vcc_lo
	s_cbranch_execz .LBB1_281
; %bb.362:                              ;   in Loop: Header=BB1_282 Depth=1
	s_mov_b32 s0, 0
.LBB1_363:                              ;   Parent Loop BB1_282 Depth=1
                                        ; =>  This Inner Loop Header: Depth=2
	s_sleep 1
	global_store_b64 v[14:15], v[4:5], off
	s_waitcnt_vscnt null, 0x0
	global_atomic_cmpswap_b64 v[16:17], v11, v[2:5], s[2:3] offset:24 glc
	s_waitcnt vmcnt(0)
	v_cmp_eq_u64_e32 vcc_lo, v[16:17], v[4:5]
	v_dual_mov_b32 v4, v16 :: v_dual_mov_b32 v5, v17
	s_or_b32 s0, vcc_lo, s0
	s_delay_alu instid0(SALU_CYCLE_1)
	s_and_not1_b32 exec_lo, exec_lo, s0
	s_cbranch_execnz .LBB1_363
	s_branch .LBB1_281
.LBB1_364:
	s_or_b32 exec_lo, exec_lo, s11
                                        ; implicit-def: $vgpr39
                                        ; implicit-def: $vgpr48
.LBB1_365:
	s_and_not1_saveexec_b32 s1, s10
	s_cbranch_execz .LBB1_393
; %bb.366:
	v_readfirstlane_b32 s0, v48
	v_mov_b32_e32 v10, 0
	v_mov_b32_e32 v11, 0
	s_delay_alu instid0(VALU_DEP_3) | instskip(NEXT) | instid1(VALU_DEP_1)
	v_cmp_eq_u32_e64 s0, s0, v48
	s_and_saveexec_b32 s4, s0
	s_cbranch_execz .LBB1_372
; %bb.367:
	s_waitcnt vmcnt(0)
	v_mov_b32_e32 v2, 0
	s_mov_b32 s5, exec_lo
	global_load_b64 v[5:6], v2, s[2:3] offset:24 glc
	s_waitcnt vmcnt(0)
	buffer_gl1_inv
	buffer_gl0_inv
	s_clause 0x1
	global_load_b64 v[3:4], v2, s[2:3] offset:40
	global_load_b64 v[10:11], v2, s[2:3]
	s_waitcnt vmcnt(1)
	v_and_b32_e32 v3, v3, v5
	v_and_b32_e32 v4, v4, v6
	s_delay_alu instid0(VALU_DEP_2) | instskip(NEXT) | instid1(VALU_DEP_2)
	v_mul_hi_u32 v7, v3, 24
	v_mul_lo_u32 v4, v4, 24
	v_mul_lo_u32 v3, v3, 24
	s_delay_alu instid0(VALU_DEP_2) | instskip(SKIP_1) | instid1(VALU_DEP_2)
	v_add_nc_u32_e32 v4, v7, v4
	s_waitcnt vmcnt(0)
	v_add_co_u32 v3, vcc_lo, v10, v3
	s_delay_alu instid0(VALU_DEP_2)
	v_add_co_ci_u32_e32 v4, vcc_lo, v11, v4, vcc_lo
	global_load_b64 v[3:4], v[3:4], off glc
	s_waitcnt vmcnt(0)
	global_atomic_cmpswap_b64 v[10:11], v2, v[3:6], s[2:3] offset:24 glc
	s_waitcnt vmcnt(0)
	buffer_gl1_inv
	buffer_gl0_inv
	v_cmpx_ne_u64_e64 v[10:11], v[5:6]
	s_cbranch_execz .LBB1_371
; %bb.368:
	s_mov_b32 s6, 0
	.p2align	6
.LBB1_369:                              ; =>This Inner Loop Header: Depth=1
	s_sleep 1
	s_clause 0x1
	global_load_b64 v[3:4], v2, s[2:3] offset:40
	global_load_b64 v[12:13], v2, s[2:3]
	v_dual_mov_b32 v5, v10 :: v_dual_mov_b32 v6, v11
	s_waitcnt vmcnt(1)
	s_delay_alu instid0(VALU_DEP_1) | instskip(SKIP_1) | instid1(VALU_DEP_1)
	v_and_b32_e32 v3, v3, v5
	s_waitcnt vmcnt(0)
	v_mad_u64_u32 v[10:11], null, v3, 24, v[12:13]
	s_delay_alu instid0(VALU_DEP_1) | instskip(NEXT) | instid1(VALU_DEP_1)
	v_dual_mov_b32 v3, v11 :: v_dual_and_b32 v4, v4, v6
	v_mad_u64_u32 v[11:12], null, v4, 24, v[3:4]
	global_load_b64 v[3:4], v[10:11], off glc
	s_waitcnt vmcnt(0)
	global_atomic_cmpswap_b64 v[10:11], v2, v[3:6], s[2:3] offset:24 glc
	s_waitcnt vmcnt(0)
	buffer_gl1_inv
	buffer_gl0_inv
	v_cmp_eq_u64_e32 vcc_lo, v[10:11], v[5:6]
	s_or_b32 s6, vcc_lo, s6
	s_delay_alu instid0(SALU_CYCLE_1)
	s_and_not1_b32 exec_lo, exec_lo, s6
	s_cbranch_execnz .LBB1_369
; %bb.370:
	s_or_b32 exec_lo, exec_lo, s6
.LBB1_371:
	s_delay_alu instid0(SALU_CYCLE_1)
	s_or_b32 exec_lo, exec_lo, s5
.LBB1_372:
	s_delay_alu instid0(SALU_CYCLE_1)
	s_or_b32 exec_lo, exec_lo, s4
	s_waitcnt vmcnt(0)
	v_mov_b32_e32 v2, 0
	v_readfirstlane_b32 s4, v10
	v_readfirstlane_b32 s5, v11
	s_mov_b32 s10, exec_lo
	s_clause 0x1
	global_load_b64 v[12:13], v2, s[2:3] offset:40
	global_load_b128 v[4:7], v2, s[2:3]
	s_waitcnt vmcnt(1)
	v_readfirstlane_b32 s6, v12
	v_readfirstlane_b32 s7, v13
	s_delay_alu instid0(VALU_DEP_1) | instskip(NEXT) | instid1(SALU_CYCLE_1)
	s_and_b64 s[6:7], s[4:5], s[6:7]
	s_mul_i32 s11, s7, 24
	s_mul_hi_u32 s12, s6, 24
	s_mul_i32 s13, s6, 24
	s_add_i32 s12, s12, s11
	s_waitcnt vmcnt(0)
	v_add_co_u32 v10, vcc_lo, v4, s13
	v_add_co_ci_u32_e32 v11, vcc_lo, s12, v5, vcc_lo
	s_and_saveexec_b32 s11, s0
	s_cbranch_execz .LBB1_374
; %bb.373:
	v_dual_mov_b32 v12, s10 :: v_dual_mov_b32 v13, v2
	v_dual_mov_b32 v14, 2 :: v_dual_mov_b32 v15, 1
	global_store_b128 v[10:11], v[12:15], off offset:8
.LBB1_374:
	s_or_b32 exec_lo, exec_lo, s11
	s_lshl_b64 s[6:7], s[6:7], 12
	s_mov_b32 s12, 0
	v_add_co_u32 v6, vcc_lo, v6, s6
	v_add_co_ci_u32_e32 v7, vcc_lo, s7, v7, vcc_lo
	s_mov_b32 s13, s12
	s_delay_alu instid0(VALU_DEP_2)
	v_readfirstlane_b32 s6, v6
	v_add_co_u32 v6, vcc_lo, v6, v39
	s_mov_b32 s14, s12
	s_mov_b32 s15, s12
	v_and_or_b32 v0, 0xffffff1f, v0, 32
	v_dual_mov_b32 v3, v2 :: v_dual_mov_b32 v12, s12
	v_readfirstlane_b32 s7, v7
	v_add_co_ci_u32_e32 v7, vcc_lo, 0, v7, vcc_lo
	v_dual_mov_b32 v13, s13 :: v_dual_mov_b32 v14, s14
	v_mov_b32_e32 v15, s15
	s_clause 0x3
	global_store_b128 v39, v[0:3], s[6:7]
	global_store_b128 v39, v[12:15], s[6:7] offset:16
	global_store_b128 v39, v[12:15], s[6:7] offset:32
	;; [unrolled: 1-line block ×3, first 2 shown]
	s_and_saveexec_b32 s6, s0
	s_cbranch_execz .LBB1_382
; %bb.375:
	v_dual_mov_b32 v12, 0 :: v_dual_mov_b32 v13, s4
	v_mov_b32_e32 v14, s5
	s_clause 0x1
	global_load_b64 v[15:16], v12, s[2:3] offset:32 glc
	global_load_b64 v[0:1], v12, s[2:3] offset:40
	s_waitcnt vmcnt(0)
	v_readfirstlane_b32 s10, v0
	v_readfirstlane_b32 s11, v1
	s_delay_alu instid0(VALU_DEP_1) | instskip(NEXT) | instid1(SALU_CYCLE_1)
	s_and_b64 s[10:11], s[10:11], s[4:5]
	s_mul_i32 s7, s11, 24
	s_mul_hi_u32 s11, s10, 24
	s_mul_i32 s10, s10, 24
	s_add_i32 s11, s11, s7
	v_add_co_u32 v4, vcc_lo, v4, s10
	v_add_co_ci_u32_e32 v5, vcc_lo, s11, v5, vcc_lo
	s_mov_b32 s7, exec_lo
	global_store_b64 v[4:5], v[15:16], off
	s_waitcnt_vscnt null, 0x0
	global_atomic_cmpswap_b64 v[2:3], v12, v[13:16], s[2:3] offset:32 glc
	s_waitcnt vmcnt(0)
	v_cmpx_ne_u64_e64 v[2:3], v[15:16]
	s_cbranch_execz .LBB1_378
; %bb.376:
	s_mov_b32 s10, 0
.LBB1_377:                              ; =>This Inner Loop Header: Depth=1
	v_dual_mov_b32 v0, s4 :: v_dual_mov_b32 v1, s5
	s_sleep 1
	global_store_b64 v[4:5], v[2:3], off
	s_waitcnt_vscnt null, 0x0
	global_atomic_cmpswap_b64 v[0:1], v12, v[0:3], s[2:3] offset:32 glc
	s_waitcnt vmcnt(0)
	v_cmp_eq_u64_e32 vcc_lo, v[0:1], v[2:3]
	v_dual_mov_b32 v3, v1 :: v_dual_mov_b32 v2, v0
	s_or_b32 s10, vcc_lo, s10
	s_delay_alu instid0(SALU_CYCLE_1)
	s_and_not1_b32 exec_lo, exec_lo, s10
	s_cbranch_execnz .LBB1_377
.LBB1_378:
	s_or_b32 exec_lo, exec_lo, s7
	v_mov_b32_e32 v3, 0
	s_mov_b32 s10, exec_lo
	s_mov_b32 s7, exec_lo
	v_mbcnt_lo_u32_b32 v2, s10, 0
	global_load_b64 v[0:1], v3, s[2:3] offset:16
	v_cmpx_eq_u32_e32 0, v2
	s_cbranch_execz .LBB1_380
; %bb.379:
	s_bcnt1_i32_b32 s10, s10
	s_delay_alu instid0(SALU_CYCLE_1)
	v_mov_b32_e32 v2, s10
	s_waitcnt vmcnt(0)
	global_atomic_add_u64 v[0:1], v[2:3], off offset:8
.LBB1_380:
	s_or_b32 exec_lo, exec_lo, s7
	s_waitcnt vmcnt(0)
	global_load_b64 v[2:3], v[0:1], off offset:16
	s_waitcnt vmcnt(0)
	v_cmp_eq_u64_e32 vcc_lo, 0, v[2:3]
	s_cbranch_vccnz .LBB1_382
; %bb.381:
	global_load_b32 v0, v[0:1], off offset:24
	s_waitcnt vmcnt(0)
	v_dual_mov_b32 v1, 0 :: v_dual_and_b32 v4, 0xffffff, v0
	s_waitcnt_vscnt null, 0x0
	global_store_b64 v[2:3], v[0:1], off
	v_readfirstlane_b32 m0, v4
	s_sendmsg sendmsg(MSG_INTERRUPT)
.LBB1_382:
	s_or_b32 exec_lo, exec_lo, s6
	s_branch .LBB1_386
	.p2align	6
.LBB1_383:                              ;   in Loop: Header=BB1_386 Depth=1
	s_or_b32 exec_lo, exec_lo, s6
	s_delay_alu instid0(VALU_DEP_1) | instskip(NEXT) | instid1(VALU_DEP_1)
	v_readfirstlane_b32 s6, v0
	s_cmp_eq_u32 s6, 0
	s_cbranch_scc1 .LBB1_385
; %bb.384:                              ;   in Loop: Header=BB1_386 Depth=1
	s_sleep 1
	s_cbranch_execnz .LBB1_386
	s_branch .LBB1_388
	.p2align	6
.LBB1_385:
	s_branch .LBB1_388
.LBB1_386:                              ; =>This Inner Loop Header: Depth=1
	v_mov_b32_e32 v0, 1
	s_and_saveexec_b32 s6, s0
	s_cbranch_execz .LBB1_383
; %bb.387:                              ;   in Loop: Header=BB1_386 Depth=1
	global_load_b32 v0, v[10:11], off offset:20 glc
	s_waitcnt vmcnt(0)
	buffer_gl1_inv
	buffer_gl0_inv
	v_and_b32_e32 v0, 1, v0
	s_branch .LBB1_383
.LBB1_388:
	global_load_b64 v[0:1], v[6:7], off
	s_and_saveexec_b32 s6, s0
	s_cbranch_execz .LBB1_392
; %bb.389:
	v_mov_b32_e32 v10, 0
	s_clause 0x2
	global_load_b64 v[4:5], v10, s[2:3] offset:40
	global_load_b64 v[11:12], v10, s[2:3] offset:24 glc
	global_load_b64 v[6:7], v10, s[2:3]
	s_waitcnt vmcnt(2)
	v_add_co_u32 v13, vcc_lo, v4, 1
	v_add_co_ci_u32_e32 v14, vcc_lo, 0, v5, vcc_lo
	s_delay_alu instid0(VALU_DEP_2) | instskip(NEXT) | instid1(VALU_DEP_2)
	v_add_co_u32 v2, vcc_lo, v13, s4
	v_add_co_ci_u32_e32 v3, vcc_lo, s5, v14, vcc_lo
	s_delay_alu instid0(VALU_DEP_1) | instskip(SKIP_1) | instid1(VALU_DEP_1)
	v_cmp_eq_u64_e32 vcc_lo, 0, v[2:3]
	v_dual_cndmask_b32 v3, v3, v14 :: v_dual_cndmask_b32 v2, v2, v13
	v_and_b32_e32 v5, v3, v5
	s_delay_alu instid0(VALU_DEP_2) | instskip(NEXT) | instid1(VALU_DEP_2)
	v_and_b32_e32 v4, v2, v4
	v_mul_lo_u32 v5, v5, 24
	s_delay_alu instid0(VALU_DEP_2) | instskip(SKIP_1) | instid1(VALU_DEP_2)
	v_mul_hi_u32 v13, v4, 24
	v_mul_lo_u32 v4, v4, 24
	v_add_nc_u32_e32 v5, v13, v5
	s_waitcnt vmcnt(0)
	s_delay_alu instid0(VALU_DEP_2) | instskip(SKIP_1) | instid1(VALU_DEP_3)
	v_add_co_u32 v6, vcc_lo, v6, v4
	v_mov_b32_e32 v4, v11
	v_add_co_ci_u32_e32 v7, vcc_lo, v7, v5, vcc_lo
	v_mov_b32_e32 v5, v12
	global_store_b64 v[6:7], v[11:12], off
	s_waitcnt_vscnt null, 0x0
	global_atomic_cmpswap_b64 v[4:5], v10, v[2:5], s[2:3] offset:24 glc
	s_waitcnt vmcnt(0)
	v_cmp_ne_u64_e32 vcc_lo, v[4:5], v[11:12]
	s_and_b32 exec_lo, exec_lo, vcc_lo
	s_cbranch_execz .LBB1_392
; %bb.390:
	s_mov_b32 s0, 0
.LBB1_391:                              ; =>This Inner Loop Header: Depth=1
	s_sleep 1
	global_store_b64 v[6:7], v[4:5], off
	s_waitcnt_vscnt null, 0x0
	global_atomic_cmpswap_b64 v[11:12], v10, v[2:5], s[2:3] offset:24 glc
	s_waitcnt vmcnt(0)
	v_cmp_eq_u64_e32 vcc_lo, v[11:12], v[4:5]
	v_dual_mov_b32 v4, v11 :: v_dual_mov_b32 v5, v12
	s_or_b32 s0, vcc_lo, s0
	s_delay_alu instid0(SALU_CYCLE_1)
	s_and_not1_b32 exec_lo, exec_lo, s0
	s_cbranch_execnz .LBB1_391
.LBB1_392:
	s_or_b32 exec_lo, exec_lo, s6
.LBB1_393:
	s_delay_alu instid0(SALU_CYCLE_1)
	s_or_b32 exec_lo, exec_lo, s1
	s_waitcnt vmcnt(0)
	v_dual_mov_b32 v2, v8 :: v_dual_mov_b32 v3, v9
	s_mov_b32 s0, 0
.LBB1_394:                              ; =>This Inner Loop Header: Depth=1
	flat_load_u8 v6, v[2:3]
	v_add_co_u32 v4, vcc_lo, v2, 1
	v_add_co_ci_u32_e32 v5, vcc_lo, 0, v3, vcc_lo
	s_delay_alu instid0(VALU_DEP_1) | instskip(SKIP_3) | instid1(SALU_CYCLE_1)
	v_dual_mov_b32 v2, v4 :: v_dual_mov_b32 v3, v5
	s_waitcnt vmcnt(0) lgkmcnt(0)
	v_cmp_eq_u16_e32 vcc_lo, 0, v6
	s_or_b32 s0, vcc_lo, s0
	s_and_not1_b32 exec_lo, exec_lo, s0
	s_cbranch_execnz .LBB1_394
; %bb.395:
	s_or_b32 exec_lo, exec_lo, s0
	v_sub_nc_u32_e32 v4, v4, v8
	v_dual_mov_b32 v2, v8 :: v_dual_mov_b32 v3, v9
	v_mov_b32_e32 v6, 1
	s_getpc_b64 s[0:1]
	s_add_u32 s0, s0, __ockl_fprintf_append_string_n@rel32@lo+4
	s_addc_u32 s1, s1, __ockl_fprintf_append_string_n@rel32@hi+12
	v_ashrrev_i32_e32 v5, 31, v4
	s_swappc_b64 s[30:31], s[0:1]
	s_trap 2
	s_sendmsg_rtn_b32 s0, sendmsg(MSG_RTN_GET_DOORBELL)
	s_mov_b32 ttmp2, m0
	s_waitcnt lgkmcnt(0)
	s_and_b32 s0, s0, 0x3ff
	s_delay_alu instid0(SALU_CYCLE_1) | instskip(NEXT) | instid1(SALU_CYCLE_1)
	s_bitset1_b32 s0, 10
	s_mov_b32 m0, s0
	s_sendmsg sendmsg(MSG_INTERRUPT)
	s_mov_b32 m0, ttmp2
.LBB1_396:                              ; =>This Inner Loop Header: Depth=1
	s_sethalt 5
	s_branch .LBB1_396
.Lfunc_end1:
	.size	__assert_fail, .Lfunc_end1-__assert_fail
                                        ; -- End function
	.section	.AMDGPU.csdata,"",@progbits
; Function info:
; codeLenInByte = 16172
; NumSgprs: 36
; NumVgprs: 51
; ScratchSize: 64
; MemoryBound: 0
	.section	.text._ZN9rocsolver6v33100L18potf2_kernel_smallIfiiPfEEvbT0_T2_lS3_lPT1_,"axG",@progbits,_ZN9rocsolver6v33100L18potf2_kernel_smallIfiiPfEEvbT0_T2_lS3_lPT1_,comdat
	.globl	_ZN9rocsolver6v33100L18potf2_kernel_smallIfiiPfEEvbT0_T2_lS3_lPT1_ ; -- Begin function _ZN9rocsolver6v33100L18potf2_kernel_smallIfiiPfEEvbT0_T2_lS3_lPT1_
	.p2align	8
	.type	_ZN9rocsolver6v33100L18potf2_kernel_smallIfiiPfEEvbT0_T2_lS3_lPT1_,@function
_ZN9rocsolver6v33100L18potf2_kernel_smallIfiiPfEEvbT0_T2_lS3_lPT1_: ; @_ZN9rocsolver6v33100L18potf2_kernel_smallIfiiPfEEvbT0_T2_lS3_lPT1_
; %bb.0:
	s_load_b64 s[36:37], s[0:1], 0x3c
	s_mov_b64 s[22:23], s[0:1]
	v_mov_b32_e32 v41, v0
	s_mov_b32 s34, s15
	s_mov_b32 s32, 0
	s_waitcnt lgkmcnt(0)
	v_cmp_eq_u16_e64 s0, s37, 1
	s_delay_alu instid0(VALU_DEP_1)
	s_and_b32 vcc_lo, exec_lo, s0
	s_cbranch_vccnz .LBB2_2
; %bb.1:
	s_add_u32 s8, s22, 48
	s_addc_u32 s9, s23, 0
	s_getpc_b64 s[0:1]
	s_add_u32 s0, s0, .str@rel32@lo+4
	s_addc_u32 s1, s1, .str@rel32@hi+12
	s_getpc_b64 s[2:3]
	s_add_u32 s2, s2, __PRETTY_FUNCTION__._ZN9rocsolver6v33100L18potf2_kernel_smallIfiiPfEEvbT0_T2_lS3_lPT1_@rel32@lo+4
	s_addc_u32 s3, s3, __PRETTY_FUNCTION__._ZN9rocsolver6v33100L18potf2_kernel_smallIfiiPfEEvbT0_T2_lS3_lPT1_@rel32@hi+12
	v_dual_mov_b32 v0, s0 :: v_dual_mov_b32 v1, s1
	v_dual_mov_b32 v2, 0x125 :: v_dual_mov_b32 v3, s2
	v_mov_b32_e32 v4, s3
	s_getpc_b64 s[4:5]
	s_add_u32 s4, s4, __assert_fail@rel32@lo+4
	s_addc_u32 s5, s5, __assert_fail@rel32@hi+12
	s_delay_alu instid0(SALU_CYCLE_1)
	s_swappc_b64 s[30:31], s[4:5]
	s_mov_b32 s37, -1
	s_cbranch_execz .LBB2_3
	s_branch .LBB2_61
.LBB2_2:
	s_mov_b32 s37, 0
.LBB2_3:
	s_load_b128 s[0:3], s[22:23], 0x8
	s_waitcnt lgkmcnt(0)
	s_cmp_lg_u64 s[0:1], 0
	s_cbranch_scc0 .LBB2_21
; %bb.4:
	s_load_b128 s[24:27], s[22:23], 0x20
	s_waitcnt lgkmcnt(0)
	s_cmp_lg_u64 s[26:27], 0
	s_cbranch_scc0 .LBB2_22
; %bb.5:
	s_clause 0x1
	s_load_b64 s[28:29], s[22:23], 0x0
	s_load_b32 s38, s[22:23], 0x18
	s_mul_i32 s5, s34, s25
	s_mul_hi_u32 s7, s34, s24
	v_bfe_u32 v43, v41, 10, 10
	s_mul_i32 s6, s34, s24
	v_and_b32_e32 v42, 0x3ff, v41
	s_mov_b32 s4, -1
	s_mov_b32 s35, 0
	s_waitcnt lgkmcnt(0)
	s_waitcnt_vscnt null, 0x0
	s_barrier
	buffer_gl0_inv
	s_bitcmp1_b32 s28, 0
	v_cmp_gt_i32_e64 s21, s29, v43
	s_cselect_b32 s8, -1, 0
	s_add_i32 s7, s7, s5
	s_lshr_b32 s24, s36, 16
	s_lshl_b64 s[6:7], s[6:7], 2
	s_and_b32 s25, s36, 0xffff
	s_xor_b32 s42, s8, -1
	s_add_u32 s5, s0, s6
	s_addc_u32 s6, s1, s7
	s_lshl_b64 s[0:1], s[2:3], 2
	s_delay_alu instid0(SALU_CYCLE_1)
	s_add_u32 s28, s5, s0
	s_addc_u32 s36, s6, s1
	s_and_b32 vcc_lo, exec_lo, s42
	s_cbranch_vccz .LBB2_23
; %bb.6:
	s_mov_b32 s1, -1
	s_and_saveexec_b32 s39, s21
	s_cbranch_execz .LBB2_35
; %bb.7:
	v_lshl_add_u32 v2, v42, 2, 0
	v_mov_b32_e32 v3, v43
	s_lshl_b32 s0, s29, 1
	s_mov_b32 s3, 0
	s_or_b32 s5, s0, 1
	s_lshl_b32 s6, s25, 2
                                        ; implicit-def: $sgpr4
                                        ; implicit-def: $sgpr2
                                        ; implicit-def: $sgpr1
                                        ; implicit-def: $sgpr7
	s_branch .LBB2_9
.LBB2_8:                                ;   in Loop: Header=BB2_9 Depth=1
	s_or_b32 exec_lo, exec_lo, s11
	s_xor_b32 s9, s10, -1
	s_xor_b32 s0, s0, -1
	s_and_b32 s8, exec_lo, s8
	s_delay_alu instid0(SALU_CYCLE_1)
	s_or_b32 s3, s8, s3
	s_and_not1_b32 s1, s1, exec_lo
	s_and_b32 s8, s7, exec_lo
	s_and_not1_b32 s2, s2, exec_lo
	s_or_b32 s1, s1, s8
	s_and_b32 s8, s9, exec_lo
	s_and_not1_b32 s4, s4, exec_lo
	s_and_b32 s0, s0, exec_lo
	s_or_b32 s2, s2, s8
	s_or_b32 s4, s4, s0
	s_and_not1_b32 exec_lo, exec_lo, s3
	s_cbranch_execz .LBB2_24
.LBB2_9:                                ; =>This Loop Header: Depth=1
                                        ;     Child Loop BB2_14 Depth 2
	v_add_nc_u32_e32 v0, v3, v42
	s_mov_b32 s9, -1
	s_mov_b32 s8, exec_lo
                                        ; implicit-def: $sgpr0
                                        ; implicit-def: $sgpr10
                                        ; implicit-def: $sgpr13
	s_delay_alu instid0(VALU_DEP_1)
	v_cmpx_gt_i32_e64 s29, v0
	s_cbranch_execz .LBB2_19
; %bb.10:                               ;   in Loop: Header=BB2_9 Depth=1
	v_sub_nc_u32_e32 v1, s5, v3
	v_mad_i64_i32 v[4:5], null, v3, s38, 0
	v_cmp_lt_i32_e32 vcc_lo, -1, v3
	s_mov_b32 s10, 0
	s_delay_alu instid0(VALU_DEP_3) | instskip(NEXT) | instid1(VALU_DEP_3)
	v_mul_lo_u32 v1, v1, v3
                                        ; implicit-def: $sgpr9
                                        ; implicit-def: $sgpr13
                                        ; implicit-def: $sgpr11
                                        ; implicit-def: $sgpr12
                                        ; implicit-def: $sgpr14
                                        ; implicit-def: $sgpr17
                                        ; implicit-def: $sgpr15
                                        ; implicit-def: $sgpr18
                                        ; implicit-def: $sgpr16
	v_lshlrev_b64 v[4:5], 2, v[4:5]
	s_delay_alu instid0(VALU_DEP_2) | instskip(NEXT) | instid1(VALU_DEP_2)
	v_lshrrev_b32_e32 v6, 31, v1
	v_add_co_u32 v4, s0, s28, v4
	s_delay_alu instid0(VALU_DEP_1) | instskip(NEXT) | instid1(VALU_DEP_3)
	v_add_co_ci_u32_e64 v5, s0, s36, v5, s0
	v_add_lshl_u32 v1, v1, v6, 1
	s_delay_alu instid0(VALU_DEP_1) | instskip(NEXT) | instid1(VALU_DEP_1)
	v_and_b32_e32 v1, -4, v1
	v_add_nc_u32_e32 v6, v2, v1
	s_branch .LBB2_14
.LBB2_11:                               ;   in Loop: Header=BB2_14 Depth=2
	s_or_b32 exec_lo, exec_lo, s31
	s_delay_alu instid0(SALU_CYCLE_1)
	s_mov_b32 s0, exec_lo
	s_or_not1_b32 s40, s33, exec_lo
	s_xor_b32 s33, exec_lo, -1
	s_or_not1_b32 s31, s41, exec_lo
.LBB2_12:                               ;   in Loop: Header=BB2_14 Depth=2
	s_or_b32 exec_lo, exec_lo, s30
	s_delay_alu instid0(SALU_CYCLE_1)
	s_and_not1_b32 s16, s16, exec_lo
	s_and_b32 s30, s40, exec_lo
	s_and_not1_b32 s18, s18, exec_lo
	s_and_b32 s20, s20, exec_lo
	s_or_b32 s16, s16, s30
	s_and_not1_b32 s15, s15, exec_lo
	s_and_b32 s30, s33, exec_lo
	s_or_b32 s18, s18, s20
	s_and_not1_b32 s17, s17, exec_lo
	s_and_b32 s0, s0, exec_lo
	s_and_not1_b32 s14, s14, exec_lo
	s_and_b32 s20, s31, exec_lo
	s_or_b32 s15, s15, s30
	s_or_b32 s17, s17, s0
	;; [unrolled: 1-line block ×3, first 2 shown]
.LBB2_13:                               ;   in Loop: Header=BB2_14 Depth=2
	s_or_b32 exec_lo, exec_lo, s19
	s_xor_b32 s0, s16, -1
	s_and_b32 s19, exec_lo, s14
	s_delay_alu instid0(SALU_CYCLE_1)
	s_or_b32 s10, s19, s10
	s_and_not1_b32 s12, s12, exec_lo
	s_and_b32 s19, s18, exec_lo
	s_and_not1_b32 s11, s11, exec_lo
	s_and_b32 s20, s15, exec_lo
	s_or_b32 s12, s12, s19
	s_and_not1_b32 s13, s13, exec_lo
	s_and_b32 s19, s17, exec_lo
	s_and_not1_b32 s9, s9, exec_lo
	s_and_b32 s0, s0, exec_lo
	s_or_b32 s11, s11, s20
	s_or_b32 s13, s13, s19
	;; [unrolled: 1-line block ×3, first 2 shown]
	s_and_not1_b32 exec_lo, exec_lo, s10
	s_cbranch_execz .LBB2_18
.LBB2_14:                               ;   Parent Loop BB2_9 Depth=1
                                        ; =>  This Inner Loop Header: Depth=2
	s_or_b32 s16, s16, exec_lo
	s_or_b32 s18, s18, exec_lo
	s_and_not1_b32 s15, s15, exec_lo
	s_and_not1_b32 s17, s17, exec_lo
	s_or_b32 s14, s14, exec_lo
	s_mov_b32 s19, exec_lo
	v_cmpx_lt_i32_e32 -1, v0
	s_cbranch_execz .LBB2_13
; %bb.15:                               ;   in Loop: Header=BB2_14 Depth=2
	s_mov_b32 s20, 0
	s_mov_b32 s31, -1
	s_mov_b32 s0, 0
	s_mov_b32 s33, -1
	s_mov_b32 s40, -1
	s_and_saveexec_b32 s30, vcc_lo
	s_cbranch_execz .LBB2_12
; %bb.16:                               ;   in Loop: Header=BB2_14 Depth=2
	s_mov_b32 s41, -1
	s_mov_b32 s31, exec_lo
	v_cmpx_ge_u32_e64 v0, v3
	s_cbranch_execz .LBB2_11
; %bb.17:                               ;   in Loop: Header=BB2_14 Depth=2
	v_ashrrev_i32_e32 v1, 31, v0
	s_xor_b32 s33, exec_lo, -1
	s_delay_alu instid0(VALU_DEP_1) | instskip(SKIP_1) | instid1(VALU_DEP_2)
	v_lshlrev_b64 v[7:8], 2, v[0:1]
	v_add_nc_u32_e32 v0, s25, v0
	v_add_co_u32 v7, s0, v4, v7
	s_delay_alu instid0(VALU_DEP_1) | instskip(NEXT) | instid1(VALU_DEP_3)
	v_add_co_ci_u32_e64 v8, s0, v5, v8, s0
	v_cmp_le_i32_e64 s0, s29, v0
	global_load_b32 v1, v[7:8], off
	s_or_not1_b32 s41, s0, exec_lo
	s_waitcnt vmcnt(0)
	ds_store_b32 v6, v1
	v_add_nc_u32_e32 v6, s6, v6
	s_branch .LBB2_11
.LBB2_18:                               ;   in Loop: Header=BB2_9 Depth=1
	s_or_b32 exec_lo, exec_lo, s10
	s_delay_alu instid0(SALU_CYCLE_1)
	s_and_b32 s13, s13, exec_lo
	s_and_b32 s10, s11, exec_lo
	;; [unrolled: 1-line block ×3, first 2 shown]
	s_or_not1_b32 s9, s9, exec_lo
.LBB2_19:                               ;   in Loop: Header=BB2_9 Depth=1
	s_or_b32 exec_lo, exec_lo, s8
	s_delay_alu instid0(SALU_CYCLE_1)
	s_and_not1_b32 s7, s7, exec_lo
	s_and_b32 s11, s13, exec_lo
	s_mov_b32 s8, -1
	s_or_b32 s7, s7, s11
	s_and_saveexec_b32 s11, s9
	s_cbranch_execz .LBB2_8
; %bb.20:                               ;   in Loop: Header=BB2_9 Depth=1
	v_add_nc_u32_e32 v3, s24, v3
	s_and_not1_b32 s7, s7, exec_lo
	s_and_not1_b32 s10, s10, exec_lo
	;; [unrolled: 1-line block ×3, first 2 shown]
	s_delay_alu instid0(VALU_DEP_1)
	v_cmp_le_i32_e32 vcc_lo, s29, v3
	s_or_not1_b32 s8, vcc_lo, exec_lo
	s_branch .LBB2_8
.LBB2_21:
	s_cbranch_execnz .LBB2_60
	s_branch .LBB2_61
.LBB2_22:
	s_cbranch_execnz .LBB2_58
	s_branch .LBB2_59
.LBB2_23:
	s_mov_b32 s1, 0
	s_and_b32 vcc_lo, exec_lo, s4
	s_mov_b32 s40, 0
	s_mov_b32 s39, 0
	s_cbranch_vccnz .LBB2_36
	s_branch .LBB2_53
.LBB2_24:
	s_or_b32 exec_lo, exec_lo, s3
	s_mov_b32 s41, 0
	s_mov_b32 s44, s37
	s_and_saveexec_b32 s0, s4
	s_delay_alu instid0(SALU_CYCLE_1)
	s_xor_b32 s40, exec_lo, s0
	s_cbranch_execz .LBB2_32
; %bb.25:
	s_mov_b32 s43, 0
	s_mov_b32 s44, s37
	s_and_saveexec_b32 s0, s2
	s_delay_alu instid0(SALU_CYCLE_1)
	s_xor_b32 s41, exec_lo, s0
	s_cbranch_execz .LBB2_29
; %bb.26:
	s_mov_b32 s0, -1
	s_mov_b32 s2, s37
	s_and_saveexec_b32 s3, s1
	s_delay_alu instid0(SALU_CYCLE_1)
	s_xor_b32 s43, exec_lo, s3
	s_cbranch_execz .LBB2_28
; %bb.27:
	s_add_u32 s8, s22, 48
	s_addc_u32 s9, s23, 0
	s_getpc_b64 s[0:1]
	s_add_u32 s0, s0, .str.8@rel32@lo+4
	s_addc_u32 s1, s1, .str.8@rel32@hi+12
	s_getpc_b64 s[2:3]
	s_add_u32 s2, s2, __PRETTY_FUNCTION__._ZN9rocsolver6v33100L9idx_lowerIiEET_S2_S2_S2_@rel32@lo+4
	s_addc_u32 s3, s3, __PRETTY_FUNCTION__._ZN9rocsolver6v33100L9idx_lowerIiEET_S2_S2_S2_@rel32@hi+12
	v_dual_mov_b32 v0, s0 :: v_dual_mov_b32 v1, s1
	v_dual_mov_b32 v2, 0x51 :: v_dual_mov_b32 v3, s2
	v_mov_b32_e32 v4, s3
	s_getpc_b64 s[4:5]
	s_add_u32 s4, s4, __assert_fail@rel32@lo+4
	s_addc_u32 s5, s5, __assert_fail@rel32@hi+12
	s_delay_alu instid0(SALU_CYCLE_1)
	s_swappc_b64 s[30:31], s[4:5]
	s_or_b32 s2, s37, exec_lo
	s_xor_b32 s0, exec_lo, -1
.LBB2_28:
	s_or_b32 exec_lo, exec_lo, s43
	s_delay_alu instid0(SALU_CYCLE_1)
	s_and_not1_b32 s1, s37, exec_lo
	s_and_b32 s2, s2, exec_lo
	s_and_b32 s43, s0, exec_lo
	s_or_b32 s44, s1, s2
.LBB2_29:
	s_and_not1_saveexec_b32 s41, s41
	s_cbranch_execz .LBB2_31
; %bb.30:
	s_add_u32 s8, s22, 48
	s_addc_u32 s9, s23, 0
	s_getpc_b64 s[0:1]
	s_add_u32 s0, s0, .str.7@rel32@lo+4
	s_addc_u32 s1, s1, .str.7@rel32@hi+12
	s_getpc_b64 s[2:3]
	s_add_u32 s2, s2, __PRETTY_FUNCTION__._ZN9rocsolver6v33100L9idx_lowerIiEET_S2_S2_S2_@rel32@lo+4
	s_addc_u32 s3, s3, __PRETTY_FUNCTION__._ZN9rocsolver6v33100L9idx_lowerIiEET_S2_S2_S2_@rel32@hi+12
	v_dual_mov_b32 v0, s0 :: v_dual_mov_b32 v1, s1
	v_dual_mov_b32 v2, 0x50 :: v_dual_mov_b32 v3, s2
	v_mov_b32_e32 v4, s3
	s_getpc_b64 s[4:5]
	s_add_u32 s4, s4, __assert_fail@rel32@lo+4
	s_addc_u32 s5, s5, __assert_fail@rel32@hi+12
	s_delay_alu instid0(SALU_CYCLE_1)
	s_swappc_b64 s[30:31], s[4:5]
	s_or_b32 s44, s44, exec_lo
.LBB2_31:
	s_or_b32 exec_lo, exec_lo, s41
	s_delay_alu instid0(SALU_CYCLE_1)
	s_and_not1_b32 s0, s37, exec_lo
	s_and_b32 s1, s44, exec_lo
	s_and_b32 s41, s43, exec_lo
	s_or_b32 s44, s0, s1
.LBB2_32:
	s_and_not1_saveexec_b32 s40, s40
	s_cbranch_execz .LBB2_34
; %bb.33:
	s_add_u32 s8, s22, 48
	s_addc_u32 s9, s23, 0
	s_getpc_b64 s[0:1]
	s_add_u32 s0, s0, .str.6@rel32@lo+4
	s_addc_u32 s1, s1, .str.6@rel32@hi+12
	s_getpc_b64 s[2:3]
	s_add_u32 s2, s2, __PRETTY_FUNCTION__._ZN9rocsolver6v33100L9idx_lowerIiEET_S2_S2_S2_@rel32@lo+4
	s_addc_u32 s3, s3, __PRETTY_FUNCTION__._ZN9rocsolver6v33100L9idx_lowerIiEET_S2_S2_S2_@rel32@hi+12
	v_dual_mov_b32 v0, s0 :: v_dual_mov_b32 v1, s1
	v_dual_mov_b32 v2, 0x4f :: v_dual_mov_b32 v3, s2
	v_mov_b32_e32 v4, s3
	s_getpc_b64 s[4:5]
	s_add_u32 s4, s4, __assert_fail@rel32@lo+4
	s_addc_u32 s5, s5, __assert_fail@rel32@hi+12
	s_delay_alu instid0(SALU_CYCLE_1)
	s_swappc_b64 s[30:31], s[4:5]
	s_or_b32 s44, s44, exec_lo
.LBB2_34:
	s_or_b32 exec_lo, exec_lo, s40
	s_delay_alu instid0(SALU_CYCLE_1) | instskip(SKIP_1) | instid1(SALU_CYCLE_1)
	s_and_not1_b32 s0, s37, exec_lo
	s_and_b32 s1, s44, exec_lo
	s_or_b32 s37, s0, s1
	s_or_not1_b32 s1, s41, exec_lo
.LBB2_35:
	s_or_b32 exec_lo, exec_lo, s39
	s_mov_b32 s40, 0
	s_mov_b32 s39, 0
	s_branch .LBB2_53
.LBB2_36:
	s_mov_b32 s1, -1
	s_and_saveexec_b32 s0, s21
	s_cbranch_execz .LBB2_52
; %bb.37:
	v_lshlrev_b32_e32 v0, 2, v43
	v_dual_mov_b32 v4, v43 :: v_dual_lshlrev_b32 v1, 2, v42
	s_lshl_b32 s1, s29, 1
	s_lshl_b32 s2, s25, 2
	v_sub_nc_u32_e32 v2, s1, v42
	s_delay_alu instid0(VALU_DEP_2)
	v_sub_nc_u32_e32 v0, v0, v1
	s_mov_b32 s1, 0
	s_lshl_b32 s4, s24, 2
	s_sub_i32 s5, 0, s2
	v_add_nc_u32_e32 v2, 1, v2
	v_add_nc_u32_e32 v3, 0, v0
                                        ; implicit-def: $sgpr3
                                        ; implicit-def: $sgpr2
	s_branch .LBB2_39
.LBB2_38:                               ;   in Loop: Header=BB2_39 Depth=1
	s_or_b32 exec_lo, exec_lo, s9
	s_xor_b32 s7, s10, -1
	s_xor_b32 s8, s8, -1
	s_and_b32 s6, exec_lo, s6
	s_delay_alu instid0(SALU_CYCLE_1)
	s_or_b32 s1, s6, s1
	s_and_not1_b32 s2, s2, exec_lo
	s_and_b32 s6, s7, exec_lo
	s_and_not1_b32 s3, s3, exec_lo
	s_and_b32 s7, s8, exec_lo
	s_or_b32 s2, s2, s6
	s_or_b32 s3, s3, s7
	s_and_not1_b32 exec_lo, exec_lo, s1
	s_cbranch_execz .LBB2_49
.LBB2_39:                               ; =>This Loop Header: Depth=1
                                        ;     Child Loop BB2_43 Depth 2
	s_mov_b32 s7, -1
	s_mov_b32 s6, exec_lo
                                        ; implicit-def: $sgpr8
                                        ; implicit-def: $sgpr10
	v_cmpx_le_i32_e64 v42, v4
	s_cbranch_execz .LBB2_47
; %bb.40:                               ;   in Loop: Header=BB2_39 Depth=1
	v_mad_i64_i32 v[0:1], null, v4, s38, 0
	v_dual_mov_b32 v5, v3 :: v_dual_mov_b32 v6, v2
	s_mov_b32 s8, 0
                                        ; implicit-def: $sgpr7
                                        ; implicit-def: $sgpr11
                                        ; implicit-def: $sgpr9
                                        ; implicit-def: $sgpr13
                                        ; implicit-def: $sgpr10
                                        ; implicit-def: $sgpr12
                                        ; implicit-def: $sgpr14
	s_delay_alu instid0(VALU_DEP_2) | instskip(NEXT) | instid1(VALU_DEP_1)
	v_lshlrev_b64 v[0:1], 2, v[0:1]
	v_add_co_u32 v7, vcc_lo, s28, v0
	s_delay_alu instid0(VALU_DEP_2)
	v_add_co_ci_u32_e32 v8, vcc_lo, s36, v1, vcc_lo
	v_mov_b32_e32 v0, v42
	s_branch .LBB2_43
.LBB2_41:                               ;   in Loop: Header=BB2_43 Depth=2
	s_or_b32 exec_lo, exec_lo, s16
	s_delay_alu instid0(SALU_CYCLE_1)
	s_and_not1_b32 s14, s14, exec_lo
	s_and_b32 s16, s18, exec_lo
	s_and_not1_b32 s13, s13, exec_lo
	s_or_b32 s14, s14, s16
	s_and_b32 s16, s17, exec_lo
	s_and_not1_b32 s12, s12, exec_lo
	s_or_b32 s10, s10, exec_lo
	s_or_b32 s13, s13, s16
.LBB2_42:                               ;   in Loop: Header=BB2_43 Depth=2
	s_or_b32 exec_lo, exec_lo, s15
	s_xor_b32 s15, s14, -1
	s_and_b32 s16, exec_lo, s13
	s_delay_alu instid0(SALU_CYCLE_1)
	s_or_b32 s8, s16, s8
	s_and_not1_b32 s9, s9, exec_lo
	s_and_b32 s16, s12, exec_lo
	s_and_not1_b32 s11, s11, exec_lo
	s_or_b32 s9, s9, s16
	s_and_b32 s16, s10, exec_lo
	s_and_not1_b32 s7, s7, exec_lo
	s_and_b32 s15, s15, exec_lo
	s_or_b32 s11, s11, s16
	s_or_b32 s7, s7, s15
	s_and_not1_b32 exec_lo, exec_lo, s8
	s_cbranch_execz .LBB2_46
.LBB2_43:                               ;   Parent Loop BB2_39 Depth=1
                                        ; =>  This Inner Loop Header: Depth=2
	s_or_b32 s14, s14, exec_lo
	s_or_b32 s12, s12, exec_lo
	s_and_not1_b32 s10, s10, exec_lo
	s_or_b32 s13, s13, exec_lo
	s_mov_b32 s15, exec_lo
	v_cmpx_lt_i32_e32 -1, v0
	s_cbranch_execz .LBB2_42
; %bb.44:                               ;   in Loop: Header=BB2_43 Depth=2
	s_mov_b32 s17, -1
	s_mov_b32 s18, -1
	s_mov_b32 s16, exec_lo
	v_cmpx_ge_u32_e64 v4, v0
	s_cbranch_execz .LBB2_41
; %bb.45:                               ;   in Loop: Header=BB2_43 Depth=2
	v_ashrrev_i32_e32 v1, 31, v0
	s_xor_b32 s18, exec_lo, -1
	s_delay_alu instid0(VALU_DEP_1) | instskip(NEXT) | instid1(VALU_DEP_1)
	v_lshlrev_b64 v[9:10], 2, v[0:1]
	v_add_co_u32 v9, vcc_lo, v7, v9
	s_delay_alu instid0(VALU_DEP_2) | instskip(SKIP_4) | instid1(VALU_DEP_2)
	v_add_co_ci_u32_e32 v10, vcc_lo, v8, v10, vcc_lo
	global_load_b32 v1, v[9:10], off
	v_mul_lo_u32 v9, v6, v0
	v_add_nc_u32_e32 v0, s25, v0
	v_subrev_nc_u32_e32 v6, s25, v6
	v_cmp_gt_i32_e32 vcc_lo, v0, v4
	s_delay_alu instid0(VALU_DEP_4) | instskip(SKIP_1) | instid1(VALU_DEP_1)
	v_lshrrev_b32_e32 v10, 31, v9
	s_or_not1_b32 s17, vcc_lo, exec_lo
	v_add_lshl_u32 v9, v9, v10, 1
	s_delay_alu instid0(VALU_DEP_1) | instskip(NEXT) | instid1(VALU_DEP_1)
	v_and_b32_e32 v9, -4, v9
	v_add_nc_u32_e32 v9, v5, v9
	v_add_nc_u32_e32 v5, s5, v5
	s_waitcnt vmcnt(0)
	ds_store_b32 v9, v1
	s_branch .LBB2_41
.LBB2_46:                               ;   in Loop: Header=BB2_39 Depth=1
	s_or_b32 exec_lo, exec_lo, s8
	s_delay_alu instid0(SALU_CYCLE_1)
	s_and_b32 s10, s11, exec_lo
	s_and_b32 s8, s9, exec_lo
	s_or_not1_b32 s7, s7, exec_lo
.LBB2_47:                               ;   in Loop: Header=BB2_39 Depth=1
	s_or_b32 exec_lo, exec_lo, s6
	s_mov_b32 s6, -1
	s_and_saveexec_b32 s9, s7
	s_cbranch_execz .LBB2_38
; %bb.48:                               ;   in Loop: Header=BB2_39 Depth=1
	v_add_nc_u32_e32 v4, s24, v4
	v_add_nc_u32_e32 v3, s4, v3
	s_and_not1_b32 s10, s10, exec_lo
	s_and_not1_b32 s8, s8, exec_lo
	s_delay_alu instid0(VALU_DEP_2)
	v_cmp_le_i32_e32 vcc_lo, s29, v4
	s_or_not1_b32 s6, vcc_lo, exec_lo
	s_branch .LBB2_38
.LBB2_49:
	s_or_b32 exec_lo, exec_lo, s1
	s_mov_b32 s1, 0
	s_mov_b32 s5, -1
	s_mov_b32 s4, 0
	s_and_saveexec_b32 s6, s3
	s_delay_alu instid0(SALU_CYCLE_1)
	s_xor_b32 s3, exec_lo, s6
; %bb.50:
	s_mov_b32 s4, exec_lo
	s_xor_b32 s5, exec_lo, -1
	s_and_b32 s1, s2, exec_lo
; %bb.51:
	s_or_b32 exec_lo, exec_lo, s3
	s_delay_alu instid0(SALU_CYCLE_1)
	s_and_b32 s39, s5, exec_lo
	s_and_b32 s40, s4, exec_lo
	s_or_not1_b32 s1, s1, exec_lo
.LBB2_52:
	s_or_b32 exec_lo, exec_lo, s0
.LBB2_53:
	s_and_saveexec_b32 s41, s1
	s_cbranch_execnz .LBB2_64
; %bb.54:
	s_or_b32 exec_lo, exec_lo, s41
	s_and_saveexec_b32 s0, s40
	s_delay_alu instid0(SALU_CYCLE_1)
	s_xor_b32 s21, exec_lo, s0
	s_cbranch_execnz .LBB2_119
.LBB2_55:
	s_or_b32 exec_lo, exec_lo, s21
	s_and_saveexec_b32 s0, s39
	s_delay_alu instid0(SALU_CYCLE_1)
	s_xor_b32 s21, exec_lo, s0
	s_cbranch_execz .LBB2_57
.LBB2_56:
	s_add_u32 s8, s22, 48
	s_addc_u32 s9, s23, 0
	s_getpc_b64 s[0:1]
	s_add_u32 s0, s0, .str.7@rel32@lo+4
	s_addc_u32 s1, s1, .str.7@rel32@hi+12
	s_getpc_b64 s[2:3]
	s_add_u32 s2, s2, __PRETTY_FUNCTION__._ZN9rocsolver6v33100L9idx_lowerIiEET_S2_S2_S2_@rel32@lo+4
	s_addc_u32 s3, s3, __PRETTY_FUNCTION__._ZN9rocsolver6v33100L9idx_lowerIiEET_S2_S2_S2_@rel32@hi+12
	v_dual_mov_b32 v0, s0 :: v_dual_mov_b32 v1, s1
	v_dual_mov_b32 v2, 0x50 :: v_dual_mov_b32 v3, s2
	v_mov_b32_e32 v4, s3
	s_getpc_b64 s[4:5]
	s_add_u32 s4, s4, __assert_fail@rel32@lo+4
	s_addc_u32 s5, s5, __assert_fail@rel32@hi+12
	s_delay_alu instid0(SALU_CYCLE_1)
	s_swappc_b64 s[30:31], s[4:5]
	s_or_b32 s37, s37, exec_lo
.LBB2_57:
	s_or_b32 exec_lo, exec_lo, s21
	s_branch .LBB2_59
.LBB2_58:
	s_add_u32 s8, s22, 48
	s_addc_u32 s9, s23, 0
	s_getpc_b64 s[0:1]
	s_add_u32 s0, s0, .str.3@rel32@lo+4
	s_addc_u32 s1, s1, .str.3@rel32@hi+12
	s_getpc_b64 s[2:3]
	s_add_u32 s2, s2, __PRETTY_FUNCTION__._ZN9rocsolver6v33100L18potf2_kernel_smallIfiiPfEEvbT0_T2_lS3_lPT1_@rel32@lo+4
	s_addc_u32 s3, s3, __PRETTY_FUNCTION__._ZN9rocsolver6v33100L18potf2_kernel_smallIfiiPfEEvbT0_T2_lS3_lPT1_@rel32@hi+12
	v_dual_mov_b32 v0, s0 :: v_dual_mov_b32 v1, s1
	v_dual_mov_b32 v2, 0x12c :: v_dual_mov_b32 v3, s2
	v_mov_b32_e32 v4, s3
	s_getpc_b64 s[4:5]
	s_add_u32 s4, s4, __assert_fail@rel32@lo+4
	s_addc_u32 s5, s5, __assert_fail@rel32@hi+12
	s_delay_alu instid0(SALU_CYCLE_1)
	s_swappc_b64 s[30:31], s[4:5]
	s_or_b32 s37, s37, exec_lo
.LBB2_59:
	s_branch .LBB2_61
.LBB2_60:
	s_add_u32 s8, s22, 48
	s_addc_u32 s9, s23, 0
	s_getpc_b64 s[0:1]
	s_add_u32 s0, s0, .str.2@rel32@lo+4
	s_addc_u32 s1, s1, .str.2@rel32@hi+12
	s_getpc_b64 s[2:3]
	s_add_u32 s2, s2, __PRETTY_FUNCTION__._ZN9rocsolver6v33100L18potf2_kernel_smallIfiiPfEEvbT0_T2_lS3_lPT1_@rel32@lo+4
	s_addc_u32 s3, s3, __PRETTY_FUNCTION__._ZN9rocsolver6v33100L18potf2_kernel_smallIfiiPfEEvbT0_T2_lS3_lPT1_@rel32@hi+12
	v_dual_mov_b32 v0, s0 :: v_dual_mov_b32 v1, s1
	v_dual_mov_b32 v2, 0x12b :: v_dual_mov_b32 v3, s2
	v_mov_b32_e32 v4, s3
	s_getpc_b64 s[4:5]
	s_add_u32 s4, s4, __assert_fail@rel32@lo+4
	s_addc_u32 s5, s5, __assert_fail@rel32@hi+12
	s_delay_alu instid0(SALU_CYCLE_1)
	s_swappc_b64 s[30:31], s[4:5]
	s_or_b32 s37, s37, exec_lo
.LBB2_61:
	s_delay_alu instid0(SALU_CYCLE_1)
	s_and_saveexec_b32 s0, s37
; %bb.62:
	; divergent unreachable
; %bb.63:
	s_endpgm
.LBB2_64:
	s_cmp_gt_i32 s29, 0
	s_mov_b32 s4, 0
	s_waitcnt lgkmcnt(0)
	s_waitcnt_vscnt null, 0x0
	s_barrier
	buffer_gl0_inv
	s_cbranch_scc0 .LBB2_106
; %bb.65:
	v_bfe_u32 v0, v41, 20, 10
	s_mul_i32 s5, s24, s25
	v_mul_u32_u24_e32 v2, s25, v43
	s_lshl_b64 s[0:1], s[34:35], 2
	v_lshlrev_b32_e32 v3, 2, v43
	v_mul_lo_u32 v1, s5, v0
	s_add_u32 s2, s26, s0
	s_addc_u32 s3, s27, s1
	s_lshl_b32 s0, s29, 1
	v_lshl_add_u32 v0, v42, 2, 0
	s_or_b32 s9, s0, 1
	s_lshl_b32 s8, s5, 2
	s_lshl_b32 s10, s24, 2
	v_add3_u32 v1, v2, v42, v1
	v_sub_nc_u32_e32 v2, 0, v3
	v_mov_b32_e32 v3, 0
	s_lshl_b32 s11, s25, 2
	s_mov_b32 s13, 0
	v_cmp_eq_u32_e64 s0, 0, v1
                                        ; implicit-def: $sgpr12
                                        ; implicit-def: $sgpr7
                                        ; implicit-def: $sgpr6
	s_branch .LBB2_67
.LBB2_66:                               ;   in Loop: Header=BB2_67 Depth=1
	s_or_b32 exec_lo, exec_lo, s16
	s_xor_b32 s14, s20, -1
	s_xor_b32 s15, s18, -1
	;; [unrolled: 1-line block ×3, first 2 shown]
	s_and_b32 s1, exec_lo, s1
	s_delay_alu instid0(SALU_CYCLE_1)
	s_or_b32 s4, s1, s4
	s_and_not1_b32 s1, s6, exec_lo
	s_and_b32 s6, s14, exec_lo
	s_and_not1_b32 s12, s12, exec_lo
	s_or_b32 s6, s1, s6
	s_and_not1_b32 s1, s7, exec_lo
	s_and_b32 s7, s15, exec_lo
	s_and_b32 s14, s16, exec_lo
	s_or_b32 s7, s1, s7
	s_or_b32 s12, s12, s14
	s_and_not1_b32 exec_lo, exec_lo, s4
	s_cbranch_execz .LBB2_101
.LBB2_67:                               ; =>This Loop Header: Depth=1
                                        ;     Child Loop BB2_79 Depth 2
                                        ;     Child Loop BB2_89 Depth 2
                                        ;       Child Loop BB2_93 Depth 3
	s_sub_i32 s1, s9, s13
	s_mov_b32 s15, 0
	s_mul_i32 s1, s1, s13
	s_delay_alu instid0(SALU_CYCLE_1) | instskip(NEXT) | instid1(SALU_CYCLE_1)
	s_lshr_b32 s14, s1, 31
	s_add_i32 s1, s1, s14
	s_delay_alu instid0(SALU_CYCLE_1) | instskip(SKIP_2) | instid1(SALU_CYCLE_1)
	s_ashr_i32 s27, s1, 1
	s_mov_b32 s1, -1
	s_lshl_b32 s16, s27, 2
	s_add_i32 s17, s16, 0
	s_delay_alu instid0(SALU_CYCLE_1) | instskip(SKIP_3) | instid1(VALU_DEP_1)
	v_mov_b32_e32 v4, s17
	ds_load_b32 v4, v4
	s_waitcnt lgkmcnt(0)
	v_cmp_class_f32_e64 s14, v4, 0x180
	s_and_b32 vcc_lo, exec_lo, s14
	s_cbranch_vccnz .LBB2_72
; %bb.68:                               ;   in Loop: Header=BB2_67 Depth=1
	s_and_saveexec_b32 s1, s0
	s_cbranch_execz .LBB2_71
; %bb.69:                               ;   in Loop: Header=BB2_67 Depth=1
	global_load_b32 v5, v3, s[2:3]
	s_waitcnt vmcnt(0)
	v_cmp_ne_u32_e32 vcc_lo, 0, v5
	s_cbranch_vccnz .LBB2_71
; %bb.70:                               ;   in Loop: Header=BB2_67 Depth=1
	s_add_i32 s15, s13, 1
	s_delay_alu instid0(SALU_CYCLE_1)
	v_mov_b32_e32 v5, s15
	global_store_b32 v3, v5, s[2:3]
.LBB2_71:                               ;   in Loop: Header=BB2_67 Depth=1
	s_or_b32 exec_lo, exec_lo, s1
	s_mov_b32 s1, 0
	s_mov_b32 s15, -1
.LBB2_72:                               ;   in Loop: Header=BB2_67 Depth=1
	s_and_not1_b32 vcc_lo, exec_lo, s1
	s_cbranch_vccnz .LBB2_82
; %bb.73:                               ;   in Loop: Header=BB2_67 Depth=1
	v_mul_f32_e32 v5, 0x4f800000, v4
	v_cmp_gt_f32_e32 vcc_lo, 0xf800000, v4
	s_delay_alu instid0(VALU_DEP_2) | instskip(NEXT) | instid1(VALU_DEP_1)
	v_cndmask_b32_e32 v4, v4, v5, vcc_lo
	v_sqrt_f32_e32 v5, v4
	s_waitcnt_depctr 0xfff
	v_add_nc_u32_e32 v6, -1, v5
	v_add_nc_u32_e32 v7, 1, v5
	s_delay_alu instid0(VALU_DEP_2) | instskip(NEXT) | instid1(VALU_DEP_2)
	v_fma_f32 v8, -v6, v5, v4
	v_fma_f32 v9, -v7, v5, v4
	s_delay_alu instid0(VALU_DEP_2) | instskip(NEXT) | instid1(VALU_DEP_1)
	v_cmp_ge_f32_e64 s1, 0, v8
	v_cndmask_b32_e64 v5, v5, v6, s1
	s_delay_alu instid0(VALU_DEP_3) | instskip(NEXT) | instid1(VALU_DEP_1)
	v_cmp_lt_f32_e64 s1, 0, v9
	v_cndmask_b32_e64 v5, v5, v7, s1
	s_delay_alu instid0(VALU_DEP_1) | instskip(NEXT) | instid1(VALU_DEP_1)
	v_mul_f32_e32 v6, 0x37800000, v5
	v_cndmask_b32_e32 v5, v5, v6, vcc_lo
	v_cmp_class_f32_e64 vcc_lo, v4, 0x260
	s_delay_alu instid0(VALU_DEP_2)
	v_cndmask_b32_e32 v4, v5, v4, vcc_lo
	s_and_saveexec_b32 s1, s0
	s_cbranch_execz .LBB2_75
; %bb.74:                               ;   in Loop: Header=BB2_67 Depth=1
	v_mov_b32_e32 v5, s17
	ds_store_b32 v5, v4
.LBB2_75:                               ;   in Loop: Header=BB2_67 Depth=1
	s_or_b32 exec_lo, exec_lo, s1
	s_add_i32 s1, s13, 1
	s_mov_b32 s30, -1
	v_add_nc_u32_e32 v5, s1, v1
	s_mov_b32 s26, exec_lo
	s_waitcnt lgkmcnt(0)
	s_waitcnt_vscnt null, 0x0
	s_barrier
	buffer_gl0_inv
                                        ; implicit-def: $sgpr19
                                        ; implicit-def: $sgpr18
                                        ; implicit-def: $sgpr20
	v_cmpx_gt_i32_e64 s29, v5
	s_cbranch_execz .LBB2_84
; %bb.76:                               ;   in Loop: Header=BB2_67 Depth=1
	v_add_lshl_u32 v6, v1, s27, 2
	s_mov_b32 s18, 0
	s_mov_b32 s19, 0
                                        ; implicit-def: $sgpr27
                                        ; implicit-def: $sgpr20
                                        ; implicit-def: $sgpr30
                                        ; implicit-def: $sgpr31
                                        ; implicit-def: $sgpr35
                                        ; implicit-def: $sgpr33
                                        ; implicit-def: $sgpr34
                                        ; implicit-def: $sgpr43
	s_delay_alu instid0(VALU_DEP_1)
	v_add3_u32 v6, 0, 4, v6
	s_branch .LBB2_79
.LBB2_77:                               ;   in Loop: Header=BB2_79 Depth=2
	s_or_b32 exec_lo, exec_lo, s45
	s_delay_alu instid0(SALU_CYCLE_1)
	s_and_not1_b32 s43, s43, exec_lo
	s_and_b32 s45, s47, exec_lo
	s_and_not1_b32 s35, s35, exec_lo
	s_or_b32 s43, s43, s45
	s_and_b32 s45, s46, exec_lo
	s_and_not1_b32 s34, s34, exec_lo
	s_or_b32 s33, s33, exec_lo
	s_or_b32 s35, s35, s45
.LBB2_78:                               ;   in Loop: Header=BB2_79 Depth=2
	s_or_b32 exec_lo, exec_lo, s44
	s_xor_b32 s44, s43, -1
	s_and_b32 s45, exec_lo, s35
	s_delay_alu instid0(SALU_CYCLE_1)
	s_or_b32 s19, s45, s19
	s_and_not1_b32 s31, s31, exec_lo
	s_and_b32 s45, s34, exec_lo
	s_and_not1_b32 s30, s30, exec_lo
	s_and_b32 s46, s33, exec_lo
	s_or_b32 s31, s31, s45
	s_and_not1_b32 s20, s20, exec_lo
	s_and_b32 s45, s18, exec_lo
	s_and_not1_b32 s27, s27, exec_lo
	s_and_b32 s44, s44, exec_lo
	s_or_b32 s30, s30, s46
	s_or_b32 s20, s20, s45
	;; [unrolled: 1-line block ×3, first 2 shown]
	s_and_not1_b32 exec_lo, exec_lo, s19
	s_cbranch_execz .LBB2_83
.LBB2_79:                               ;   Parent Loop BB2_67 Depth=1
                                        ; =>  This Inner Loop Header: Depth=2
	s_or_b32 s43, s43, exec_lo
	s_or_b32 s34, s34, exec_lo
	s_and_not1_b32 s33, s33, exec_lo
	s_or_b32 s35, s35, exec_lo
	s_mov_b32 s44, exec_lo
	v_cmpx_lt_i32_e32 -1, v5
	s_cbranch_execz .LBB2_78
; %bb.80:                               ;   in Loop: Header=BB2_79 Depth=2
	s_mov_b32 s46, -1
	s_mov_b32 s47, -1
	s_mov_b32 s45, exec_lo
	v_cmpx_le_u32_e64 s13, v5
	s_cbranch_execz .LBB2_77
; %bb.81:                               ;   in Loop: Header=BB2_79 Depth=2
	ds_load_b32 v7, v6
	v_add_nc_u32_e32 v5, s5, v5
	s_xor_b32 s47, exec_lo, -1
	s_waitcnt lgkmcnt(0)
	v_div_scale_f32 v8, null, v4, v4, v7
	v_div_scale_f32 v11, vcc_lo, v7, v4, v7
	s_delay_alu instid0(VALU_DEP_2) | instskip(SKIP_2) | instid1(VALU_DEP_1)
	v_rcp_f32_e32 v9, v8
	s_waitcnt_depctr 0xfff
	v_fma_f32 v10, -v8, v9, 1.0
	v_fmac_f32_e32 v9, v10, v9
	s_delay_alu instid0(VALU_DEP_1) | instskip(NEXT) | instid1(VALU_DEP_1)
	v_mul_f32_e32 v10, v11, v9
	v_fma_f32 v12, -v8, v10, v11
	s_delay_alu instid0(VALU_DEP_1) | instskip(NEXT) | instid1(VALU_DEP_1)
	v_fmac_f32_e32 v10, v12, v9
	v_fma_f32 v8, -v8, v10, v11
	s_delay_alu instid0(VALU_DEP_1) | instskip(SKIP_1) | instid1(VALU_DEP_2)
	v_div_fmas_f32 v8, v8, v9, v10
	v_cmp_le_i32_e32 vcc_lo, s29, v5
	v_div_fixup_f32 v7, v8, v4, v7
	s_or_not1_b32 s46, vcc_lo, exec_lo
	ds_store_b32 v6, v7
	v_add_nc_u32_e32 v6, s8, v6
	s_branch .LBB2_77
.LBB2_82:                               ;   in Loop: Header=BB2_67 Depth=1
                                        ; implicit-def: $sgpr19
                                        ; implicit-def: $sgpr18
                                        ; implicit-def: $sgpr20
	s_mov_b32 s1, -1
	s_and_saveexec_b32 s16, s15
	s_cbranch_execz .LBB2_66
	s_branch .LBB2_100
.LBB2_83:                               ;   in Loop: Header=BB2_67 Depth=1
	s_or_b32 exec_lo, exec_lo, s19
	s_delay_alu instid0(SALU_CYCLE_1)
	s_and_b32 s20, s20, exec_lo
	s_and_b32 s18, s30, exec_lo
	;; [unrolled: 1-line block ×3, first 2 shown]
	s_or_not1_b32 s30, s27, exec_lo
.LBB2_84:                               ;   in Loop: Header=BB2_67 Depth=1
	s_or_b32 exec_lo, exec_lo, s26
	s_and_saveexec_b32 s26, s30
	s_delay_alu instid0(SALU_CYCLE_1)
	s_xor_b32 s26, exec_lo, s26
	s_cbranch_execz .LBB2_99
; %bb.85:                               ;   in Loop: Header=BB2_67 Depth=1
	v_add_nc_u32_e32 v4, s1, v43
	s_mov_b32 s31, -1
	s_mov_b32 s27, exec_lo
	s_waitcnt lgkmcnt(0)
	s_barrier
	buffer_gl0_inv
                                        ; implicit-def: $sgpr33
                                        ; implicit-def: $sgpr30
	v_cmpx_gt_i32_e64 s29, v4
	s_cbranch_execz .LBB2_96
; %bb.86:                               ;   in Loop: Header=BB2_67 Depth=1
	v_dual_mov_b32 v6, v2 :: v_dual_add_nc_u32 v5, s1, v42
	s_mov_b32 s30, 0
                                        ; implicit-def: $sgpr31
                                        ; implicit-def: $sgpr34
                                        ; implicit-def: $sgpr33
	s_delay_alu instid0(VALU_DEP_1)
	v_cmp_gt_i32_e32 vcc_lo, s29, v5
	s_branch .LBB2_89
.LBB2_87:                               ;   in Loop: Header=BB2_89 Depth=2
	s_or_b32 exec_lo, exec_lo, s43
	v_add_nc_u32_e32 v4, s24, v4
	v_subrev_nc_u32_e32 v6, s10, v6
	s_and_not1_b32 s34, s34, exec_lo
	s_and_not1_b32 s33, s33, exec_lo
	s_delay_alu instid0(VALU_DEP_2) | instskip(NEXT) | instid1(VALU_DEP_1)
	v_cmp_le_i32_e64 s1, s29, v4
	s_and_b32 s1, s1, exec_lo
	s_delay_alu instid0(SALU_CYCLE_1)
	s_or_b32 s34, s34, s1
.LBB2_88:                               ;   in Loop: Header=BB2_89 Depth=2
	s_or_b32 exec_lo, exec_lo, s35
	s_xor_b32 s1, s33, -1
	s_and_b32 s35, exec_lo, s34
	s_delay_alu instid0(SALU_CYCLE_1) | instskip(SKIP_2) | instid1(SALU_CYCLE_1)
	s_or_b32 s30, s35, s30
	s_and_not1_b32 s31, s31, exec_lo
	s_and_b32 s1, s1, exec_lo
	s_or_b32 s31, s31, s1
	s_and_not1_b32 exec_lo, exec_lo, s30
	s_cbranch_execz .LBB2_95
.LBB2_89:                               ;   Parent Loop BB2_67 Depth=1
                                        ; =>  This Loop Header: Depth=2
                                        ;       Child Loop BB2_93 Depth 3
	s_or_b32 s33, s33, exec_lo
	s_or_b32 s34, s34, exec_lo
	s_mov_b32 s35, exec_lo
	v_cmpx_lt_i32_e32 -1, v4
	s_cbranch_execz .LBB2_88
; %bb.90:                               ;   in Loop: Header=BB2_89 Depth=2
	s_and_saveexec_b32 s43, vcc_lo
	s_cbranch_execz .LBB2_87
; %bb.91:                               ;   in Loop: Header=BB2_89 Depth=2
	s_waitcnt lgkmcnt(0)
	v_sub_nc_u32_e32 v7, s9, v4
	v_subrev_nc_u32_e32 v8, s13, v4
	s_mov_b32 s44, 0
	v_mov_b32_e32 v10, v5
	s_delay_alu instid0(VALU_DEP_3) | instskip(NEXT) | instid1(VALU_DEP_3)
	v_mul_lo_u32 v9, v7, v4
	v_lshl_add_u32 v7, v8, 2, s17
	ds_load_b32 v7, v7
	v_lshrrev_b32_e32 v8, 31, v9
	s_delay_alu instid0(VALU_DEP_1) | instskip(NEXT) | instid1(VALU_DEP_1)
	v_add_lshl_u32 v8, v9, v8, 1
	v_dual_mov_b32 v8, v0 :: v_dual_and_b32 v9, -4, v8
	s_delay_alu instid0(VALU_DEP_1)
	v_add_nc_u32_e32 v9, v6, v9
	s_branch .LBB2_93
	.p2align	6
.LBB2_92:                               ;   in Loop: Header=BB2_93 Depth=3
	s_or_b32 exec_lo, exec_lo, s45
	v_add_nc_u32_e32 v10, s25, v10
	v_add_nc_u32_e32 v8, s11, v8
	s_delay_alu instid0(VALU_DEP_2) | instskip(NEXT) | instid1(VALU_DEP_1)
	v_cmp_le_i32_e64 s1, s29, v10
	s_or_b32 s44, s1, s44
	s_delay_alu instid0(SALU_CYCLE_1)
	s_and_not1_b32 exec_lo, exec_lo, s44
	s_cbranch_execz .LBB2_87
.LBB2_93:                               ;   Parent Loop BB2_67 Depth=1
                                        ;     Parent Loop BB2_89 Depth=2
                                        ; =>    This Inner Loop Header: Depth=3
	s_mov_b32 s45, exec_lo
	v_cmpx_ge_i32_e64 v10, v4
	s_cbranch_execz .LBB2_92
; %bb.94:                               ;   in Loop: Header=BB2_93 Depth=3
	v_add_nc_u32_e32 v11, s16, v8
	v_add_nc_u32_e32 v12, v8, v9
	ds_load_b32 v11, v11 offset:4
	ds_load_b32 v13, v12
	s_waitcnt lgkmcnt(0)
	v_fma_f32 v11, -v7, v11, v13
	ds_store_b32 v12, v11
	s_branch .LBB2_92
.LBB2_95:                               ;   in Loop: Header=BB2_67 Depth=1
	s_or_b32 exec_lo, exec_lo, s30
	s_mov_b32 s30, 0
	s_mov_b32 s33, -1
	s_or_not1_b32 s31, s31, exec_lo
.LBB2_96:                               ;   in Loop: Header=BB2_67 Depth=1
	s_or_b32 exec_lo, exec_lo, s27
	s_mov_b32 s1, s15
	s_and_saveexec_b32 s16, s31
	s_cbranch_execz .LBB2_98
; %bb.97:                               ;   in Loop: Header=BB2_67 Depth=1
	s_or_b32 s1, s15, exec_lo
	s_waitcnt lgkmcnt(0)
	s_barrier
	buffer_gl0_inv
                                        ; implicit-def: $sgpr33
                                        ; implicit-def: $sgpr30
.LBB2_98:                               ;   in Loop: Header=BB2_67 Depth=1
	s_or_b32 exec_lo, exec_lo, s16
	s_delay_alu instid0(SALU_CYCLE_1)
	s_and_not1_b32 s16, s20, exec_lo
	s_and_b32 s17, s33, exec_lo
	s_and_not1_b32 s18, s18, exec_lo
	s_and_b32 s27, s30, exec_lo
	s_or_b32 s20, s16, s17
	s_and_not1_b32 s16, s19, exec_lo
	s_and_not1_b32 s15, s15, exec_lo
	s_and_b32 s1, s1, exec_lo
	s_or_b32 s18, s18, s27
	s_or_b32 s19, s16, s27
	;; [unrolled: 1-line block ×3, first 2 shown]
.LBB2_99:                               ;   in Loop: Header=BB2_67 Depth=1
	s_or_b32 exec_lo, exec_lo, s26
	s_mov_b32 s1, -1
	s_and_saveexec_b32 s16, s15
	s_cbranch_execz .LBB2_66
.LBB2_100:                              ;   in Loop: Header=BB2_67 Depth=1
	s_add_i32 s13, s13, 1
	s_delay_alu instid0(SALU_CYCLE_1)
	s_cmp_eq_u32 s13, s29
	s_cselect_b32 s1, -1, 0
	s_xor_b32 s14, s14, -1
	s_and_not1_b32 s20, s20, exec_lo
	s_or_b32 s1, s14, s1
	s_and_not1_b32 s18, s18, exec_lo
	s_and_not1_b32 s19, s19, exec_lo
	s_or_not1_b32 s1, s1, exec_lo
	s_branch .LBB2_66
.LBB2_101:
	s_or_b32 exec_lo, exec_lo, s4
	s_mov_b32 s1, 0
	s_mov_b32 s26, -1
	s_mov_b32 s34, 0
	s_mov_b32 s27, 0
	s_and_saveexec_b32 s0, s12
	s_cbranch_execz .LBB2_105
; %bb.102:
	s_mov_b32 s3, -1
	s_mov_b32 s2, 0
	s_and_saveexec_b32 s4, s7
	s_delay_alu instid0(SALU_CYCLE_1)
	s_xor_b32 s4, exec_lo, s4
; %bb.103:
	s_mov_b32 s2, exec_lo
	s_xor_b32 s3, exec_lo, -1
	s_and_b32 s1, s6, exec_lo
; %bb.104:
	s_or_b32 exec_lo, exec_lo, s4
	s_delay_alu instid0(SALU_CYCLE_1)
	s_xor_b32 s26, exec_lo, -1
	s_and_b32 s27, s3, exec_lo
	s_and_b32 s34, s2, exec_lo
	;; [unrolled: 1-line block ×3, first 2 shown]
.LBB2_105:
	s_or_b32 exec_lo, exec_lo, s0
	s_mov_b32 s43, s37
	s_and_saveexec_b32 s35, s1
	s_cbranch_execnz .LBB2_107
	s_branch .LBB2_114
.LBB2_106:
	s_mov_b32 s1, -1
	s_mov_b32 s34, 0
	s_mov_b32 s27, 0
	;; [unrolled: 1-line block ×4, first 2 shown]
	s_and_saveexec_b32 s35, s1
	s_cbranch_execz .LBB2_114
.LBB2_107:
	s_mov_b32 s0, -1
	s_mov_b32 s43, 0
	s_and_b32 vcc_lo, exec_lo, s42
	s_mov_b32 s1, 0
	s_mov_b32 s44, s37
	s_waitcnt lgkmcnt(0)
	s_waitcnt_vscnt null, 0x0
	s_barrier
	buffer_gl0_inv
	s_cbranch_vccnz .LBB2_122
; %bb.108:
	s_and_b32 vcc_lo, exec_lo, s0
	s_mov_b32 s42, 0
	s_cbranch_vccnz .LBB2_149
.LBB2_109:
	s_and_saveexec_b32 s0, s1
	s_cbranch_execnz .LBB2_166
.LBB2_110:
	s_or_b32 exec_lo, exec_lo, s0
	s_and_saveexec_b32 s0, s43
	s_delay_alu instid0(SALU_CYCLE_1)
	s_xor_b32 s21, exec_lo, s0
	s_cbranch_execnz .LBB2_167
.LBB2_111:
	s_or_b32 exec_lo, exec_lo, s21
	s_and_saveexec_b32 s0, s42
	s_delay_alu instid0(SALU_CYCLE_1)
	s_xor_b32 s21, exec_lo, s0
	s_cbranch_execz .LBB2_113
.LBB2_112:
	s_add_u32 s8, s22, 48
	s_addc_u32 s9, s23, 0
	s_getpc_b64 s[0:1]
	s_add_u32 s0, s0, .str.7@rel32@lo+4
	s_addc_u32 s1, s1, .str.7@rel32@hi+12
	s_getpc_b64 s[2:3]
	s_add_u32 s2, s2, __PRETTY_FUNCTION__._ZN9rocsolver6v33100L9idx_lowerIiEET_S2_S2_S2_@rel32@lo+4
	s_addc_u32 s3, s3, __PRETTY_FUNCTION__._ZN9rocsolver6v33100L9idx_lowerIiEET_S2_S2_S2_@rel32@hi+12
	v_dual_mov_b32 v0, s0 :: v_dual_mov_b32 v1, s1
	v_dual_mov_b32 v2, 0x50 :: v_dual_mov_b32 v3, s2
	v_mov_b32_e32 v4, s3
	s_getpc_b64 s[4:5]
	s_add_u32 s4, s4, __assert_fail@rel32@lo+4
	s_addc_u32 s5, s5, __assert_fail@rel32@hi+12
	s_delay_alu instid0(SALU_CYCLE_1)
	s_swappc_b64 s[30:31], s[4:5]
	s_or_b32 s44, s44, exec_lo
.LBB2_113:
	s_or_b32 exec_lo, exec_lo, s21
	s_delay_alu instid0(SALU_CYCLE_1)
	s_and_not1_b32 s0, s37, exec_lo
	s_and_b32 s1, s44, exec_lo
	s_and_not1_b32 s34, s34, exec_lo
	s_or_b32 s43, s0, s1
.LBB2_114:
	s_or_b32 exec_lo, exec_lo, s35
	s_and_saveexec_b32 s0, s34
	s_delay_alu instid0(SALU_CYCLE_1)
	s_xor_b32 s21, exec_lo, s0
	s_cbranch_execnz .LBB2_120
; %bb.115:
	s_or_b32 exec_lo, exec_lo, s21
	s_and_saveexec_b32 s0, s27
	s_delay_alu instid0(SALU_CYCLE_1)
	s_xor_b32 s21, exec_lo, s0
	s_cbranch_execnz .LBB2_121
.LBB2_116:
	s_or_b32 exec_lo, exec_lo, s21
	s_and_saveexec_b32 s0, s26
	s_delay_alu instid0(SALU_CYCLE_1)
	s_xor_b32 s21, exec_lo, s0
	s_cbranch_execz .LBB2_118
.LBB2_117:
	s_add_u32 s8, s22, 48
	s_addc_u32 s9, s23, 0
	s_getpc_b64 s[0:1]
	s_add_u32 s0, s0, .str.6@rel32@lo+4
	s_addc_u32 s1, s1, .str.6@rel32@hi+12
	s_getpc_b64 s[2:3]
	s_add_u32 s2, s2, __PRETTY_FUNCTION__._ZN9rocsolver6v33100L9idx_lowerIiEET_S2_S2_S2_@rel32@lo+4
	s_addc_u32 s3, s3, __PRETTY_FUNCTION__._ZN9rocsolver6v33100L9idx_lowerIiEET_S2_S2_S2_@rel32@hi+12
	v_dual_mov_b32 v0, s0 :: v_dual_mov_b32 v1, s1
	v_dual_mov_b32 v2, 0x4f :: v_dual_mov_b32 v3, s2
	v_mov_b32_e32 v4, s3
	s_getpc_b64 s[4:5]
	s_add_u32 s4, s4, __assert_fail@rel32@lo+4
	s_addc_u32 s5, s5, __assert_fail@rel32@hi+12
	s_delay_alu instid0(SALU_CYCLE_1)
	s_swappc_b64 s[30:31], s[4:5]
	s_or_b32 s43, s43, exec_lo
.LBB2_118:
	s_or_b32 exec_lo, exec_lo, s21
	s_delay_alu instid0(SALU_CYCLE_1)
	s_and_not1_b32 s0, s37, exec_lo
	s_and_b32 s1, s43, exec_lo
	s_and_not1_b32 s40, s40, exec_lo
	s_or_b32 s37, s0, s1
	s_or_b32 exec_lo, exec_lo, s41
	s_and_saveexec_b32 s0, s40
	s_delay_alu instid0(SALU_CYCLE_1)
	s_xor_b32 s21, exec_lo, s0
	s_cbranch_execz .LBB2_55
.LBB2_119:
	s_add_u32 s8, s22, 48
	s_addc_u32 s9, s23, 0
	s_getpc_b64 s[0:1]
	s_add_u32 s0, s0, .str.8@rel32@lo+4
	s_addc_u32 s1, s1, .str.8@rel32@hi+12
	s_getpc_b64 s[2:3]
	s_add_u32 s2, s2, __PRETTY_FUNCTION__._ZN9rocsolver6v33100L9idx_lowerIiEET_S2_S2_S2_@rel32@lo+4
	s_addc_u32 s3, s3, __PRETTY_FUNCTION__._ZN9rocsolver6v33100L9idx_lowerIiEET_S2_S2_S2_@rel32@hi+12
	v_dual_mov_b32 v0, s0 :: v_dual_mov_b32 v1, s1
	v_dual_mov_b32 v2, 0x51 :: v_dual_mov_b32 v3, s2
	v_mov_b32_e32 v4, s3
	s_getpc_b64 s[4:5]
	s_add_u32 s4, s4, __assert_fail@rel32@lo+4
	s_addc_u32 s5, s5, __assert_fail@rel32@hi+12
	s_delay_alu instid0(SALU_CYCLE_1) | instskip(SKIP_3) | instid1(SALU_CYCLE_1)
	s_swappc_b64 s[30:31], s[4:5]
	s_or_b32 s37, s37, exec_lo
	s_or_b32 exec_lo, exec_lo, s21
	s_and_saveexec_b32 s0, s39
	s_xor_b32 s21, exec_lo, s0
	s_cbranch_execnz .LBB2_56
	s_branch .LBB2_57
.LBB2_120:
	s_add_u32 s8, s22, 48
	s_addc_u32 s9, s23, 0
	s_getpc_b64 s[0:1]
	s_add_u32 s0, s0, .str.6@rel32@lo+4
	s_addc_u32 s1, s1, .str.6@rel32@hi+12
	s_getpc_b64 s[2:3]
	s_add_u32 s2, s2, __PRETTY_FUNCTION__._ZN9rocsolver6v33100L9idx_lowerIiEET_S2_S2_S2_@rel32@lo+4
	s_addc_u32 s3, s3, __PRETTY_FUNCTION__._ZN9rocsolver6v33100L9idx_lowerIiEET_S2_S2_S2_@rel32@hi+12
	v_dual_mov_b32 v0, s0 :: v_dual_mov_b32 v1, s1
	v_dual_mov_b32 v2, 0x4f :: v_dual_mov_b32 v3, s2
	v_mov_b32_e32 v4, s3
	s_getpc_b64 s[4:5]
	s_add_u32 s4, s4, __assert_fail@rel32@lo+4
	s_addc_u32 s5, s5, __assert_fail@rel32@hi+12
	s_delay_alu instid0(SALU_CYCLE_1) | instskip(SKIP_3) | instid1(SALU_CYCLE_1)
	s_swappc_b64 s[30:31], s[4:5]
	s_or_b32 s43, s43, exec_lo
	s_or_b32 exec_lo, exec_lo, s21
	s_and_saveexec_b32 s0, s27
	s_xor_b32 s21, exec_lo, s0
	s_cbranch_execz .LBB2_116
.LBB2_121:
	s_add_u32 s8, s22, 48
	s_addc_u32 s9, s23, 0
	s_getpc_b64 s[0:1]
	s_add_u32 s0, s0, .str.8@rel32@lo+4
	s_addc_u32 s1, s1, .str.8@rel32@hi+12
	s_getpc_b64 s[2:3]
	s_add_u32 s2, s2, __PRETTY_FUNCTION__._ZN9rocsolver6v33100L9idx_lowerIiEET_S2_S2_S2_@rel32@lo+4
	s_addc_u32 s3, s3, __PRETTY_FUNCTION__._ZN9rocsolver6v33100L9idx_lowerIiEET_S2_S2_S2_@rel32@hi+12
	v_dual_mov_b32 v0, s0 :: v_dual_mov_b32 v1, s1
	v_dual_mov_b32 v2, 0x51 :: v_dual_mov_b32 v3, s2
	v_mov_b32_e32 v4, s3
	s_getpc_b64 s[4:5]
	s_add_u32 s4, s4, __assert_fail@rel32@lo+4
	s_addc_u32 s5, s5, __assert_fail@rel32@hi+12
	s_delay_alu instid0(SALU_CYCLE_1) | instskip(SKIP_3) | instid1(SALU_CYCLE_1)
	s_swappc_b64 s[30:31], s[4:5]
	s_or_b32 s43, s43, exec_lo
	s_or_b32 exec_lo, exec_lo, s21
	s_and_saveexec_b32 s0, s26
	s_xor_b32 s21, exec_lo, s0
	s_cbranch_execnz .LBB2_117
	s_branch .LBB2_118
.LBB2_122:
	s_mov_b32 s1, -1
	s_mov_b32 s44, s37
	s_and_saveexec_b32 s42, s21
	s_cbranch_execz .LBB2_148
; %bb.123:
	v_lshl_add_u32 v2, v42, 2, 0
	v_mov_b32_e32 v3, v43
	s_lshl_b32 s0, s29, 1
	s_mov_b32 s4, 0
	s_or_b32 s6, s0, 1
	s_lshl_b32 s7, s25, 2
                                        ; implicit-def: $sgpr5
                                        ; implicit-def: $sgpr3
                                        ; implicit-def: $sgpr2
                                        ; implicit-def: $sgpr8
	s_branch .LBB2_125
.LBB2_124:                              ;   in Loop: Header=BB2_125 Depth=1
	s_or_b32 exec_lo, exec_lo, s11
	s_xor_b32 s1, s1, -1
	s_xor_b32 s0, s0, -1
	s_and_b32 s9, exec_lo, s9
	s_delay_alu instid0(SALU_CYCLE_1)
	s_or_b32 s4, s9, s4
	s_and_not1_b32 s2, s2, exec_lo
	s_and_b32 s9, s8, exec_lo
	s_and_not1_b32 s3, s3, exec_lo
	s_and_b32 s1, s1, exec_lo
	;; [unrolled: 2-line block ×3, first 2 shown]
	s_or_b32 s2, s2, s9
	s_or_b32 s3, s3, s1
	;; [unrolled: 1-line block ×3, first 2 shown]
	s_and_not1_b32 exec_lo, exec_lo, s4
	s_cbranch_execz .LBB2_137
.LBB2_125:                              ; =>This Loop Header: Depth=1
                                        ;     Child Loop BB2_130 Depth 2
	v_add_nc_u32_e32 v0, v3, v42
	s_mov_b32 s10, -1
	s_mov_b32 s9, exec_lo
                                        ; implicit-def: $sgpr0
                                        ; implicit-def: $sgpr1
                                        ; implicit-def: $sgpr11
	s_delay_alu instid0(VALU_DEP_1)
	v_cmpx_gt_i32_e64 s29, v0
	s_cbranch_execz .LBB2_135
; %bb.126:                              ;   in Loop: Header=BB2_125 Depth=1
	v_sub_nc_u32_e32 v1, s6, v3
	v_mad_i64_i32 v[4:5], null, v3, s38, 0
	v_cmp_lt_i32_e32 vcc_lo, -1, v3
	s_mov_b32 s11, 0
	s_delay_alu instid0(VALU_DEP_3) | instskip(NEXT) | instid1(VALU_DEP_3)
	v_mul_lo_u32 v1, v1, v3
                                        ; implicit-def: $sgpr10
                                        ; implicit-def: $sgpr14
                                        ; implicit-def: $sgpr12
                                        ; implicit-def: $sgpr13
                                        ; implicit-def: $sgpr15
                                        ; implicit-def: $sgpr18
                                        ; implicit-def: $sgpr16
                                        ; implicit-def: $sgpr19
                                        ; implicit-def: $sgpr17
	v_lshlrev_b64 v[4:5], 2, v[4:5]
	s_delay_alu instid0(VALU_DEP_2) | instskip(NEXT) | instid1(VALU_DEP_2)
	v_lshrrev_b32_e32 v6, 31, v1
	v_add_co_u32 v4, s0, s28, v4
	s_delay_alu instid0(VALU_DEP_1) | instskip(NEXT) | instid1(VALU_DEP_3)
	v_add_co_ci_u32_e64 v5, s0, s36, v5, s0
	v_add_lshl_u32 v1, v1, v6, 1
	s_delay_alu instid0(VALU_DEP_1) | instskip(NEXT) | instid1(VALU_DEP_1)
	v_and_b32_e32 v1, -4, v1
	v_add_nc_u32_e32 v6, v2, v1
	s_branch .LBB2_130
.LBB2_127:                              ;   in Loop: Header=BB2_130 Depth=2
	s_or_b32 exec_lo, exec_lo, s33
	s_delay_alu instid0(SALU_CYCLE_1)
	s_mov_b32 s0, exec_lo
	s_or_not1_b32 s44, s44, exec_lo
	s_xor_b32 s33, exec_lo, -1
	s_or_not1_b32 s1, s1, exec_lo
.LBB2_128:                              ;   in Loop: Header=BB2_130 Depth=2
	s_or_b32 exec_lo, exec_lo, s31
	s_delay_alu instid0(SALU_CYCLE_1)
	s_and_not1_b32 s17, s17, exec_lo
	s_and_b32 s31, s44, exec_lo
	s_and_not1_b32 s19, s19, exec_lo
	s_or_b32 s17, s17, s31
	s_and_b32 s30, s30, exec_lo
	s_and_not1_b32 s16, s16, exec_lo
	s_and_b32 s31, s33, exec_lo
	s_and_not1_b32 s18, s18, exec_lo
	;; [unrolled: 2-line block ×3, first 2 shown]
	s_and_b32 s1, s1, exec_lo
	s_or_b32 s19, s19, s30
	s_or_b32 s16, s16, s31
	;; [unrolled: 1-line block ×4, first 2 shown]
.LBB2_129:                              ;   in Loop: Header=BB2_130 Depth=2
	s_or_b32 exec_lo, exec_lo, s20
	s_xor_b32 s0, s17, -1
	s_and_b32 s1, exec_lo, s15
	s_delay_alu instid0(SALU_CYCLE_1)
	s_or_b32 s11, s1, s11
	s_and_not1_b32 s1, s13, exec_lo
	s_and_b32 s13, s19, exec_lo
	s_and_not1_b32 s12, s12, exec_lo
	s_and_b32 s20, s16, exec_lo
	s_or_b32 s13, s1, s13
	s_and_not1_b32 s1, s14, exec_lo
	s_and_b32 s14, s18, exec_lo
	s_and_not1_b32 s10, s10, exec_lo
	s_and_b32 s0, s0, exec_lo
	s_or_b32 s12, s12, s20
	s_or_b32 s14, s1, s14
	;; [unrolled: 1-line block ×3, first 2 shown]
	s_and_not1_b32 exec_lo, exec_lo, s11
	s_cbranch_execz .LBB2_134
.LBB2_130:                              ;   Parent Loop BB2_125 Depth=1
                                        ; =>  This Inner Loop Header: Depth=2
	s_or_b32 s17, s17, exec_lo
	s_or_b32 s19, s19, exec_lo
	s_and_not1_b32 s16, s16, exec_lo
	s_and_not1_b32 s18, s18, exec_lo
	s_or_b32 s15, s15, exec_lo
	s_mov_b32 s20, exec_lo
	v_cmpx_lt_i32_e32 -1, v0
	s_cbranch_execz .LBB2_129
; %bb.131:                              ;   in Loop: Header=BB2_130 Depth=2
	s_mov_b32 s30, 0
	s_mov_b32 s1, -1
	s_mov_b32 s0, 0
	s_mov_b32 s33, -1
	s_mov_b32 s44, -1
	s_and_saveexec_b32 s31, vcc_lo
	s_cbranch_execz .LBB2_128
; %bb.132:                              ;   in Loop: Header=BB2_130 Depth=2
	s_mov_b32 s33, exec_lo
	v_cmpx_ge_u32_e64 v0, v3
	s_cbranch_execz .LBB2_127
; %bb.133:                              ;   in Loop: Header=BB2_130 Depth=2
	ds_load_b32 v9, v6
	v_ashrrev_i32_e32 v1, 31, v0
	v_add_nc_u32_e32 v6, s7, v6
	s_xor_b32 s44, exec_lo, -1
	s_delay_alu instid0(VALU_DEP_2) | instskip(SKIP_1) | instid1(VALU_DEP_1)
	v_lshlrev_b64 v[7:8], 2, v[0:1]
	v_add_nc_u32_e32 v0, s25, v0
	v_cmp_le_i32_e64 s0, s29, v0
	s_delay_alu instid0(VALU_DEP_3) | instskip(NEXT) | instid1(VALU_DEP_1)
	v_add_co_u32 v7, s1, v4, v7
	v_add_co_ci_u32_e64 v8, s1, v5, v8, s1
	s_delay_alu instid0(VALU_DEP_3)
	s_or_not1_b32 s1, s0, exec_lo
	s_waitcnt lgkmcnt(0)
	global_store_b32 v[7:8], v9, off
	s_branch .LBB2_127
.LBB2_134:                              ;   in Loop: Header=BB2_125 Depth=1
	s_or_b32 exec_lo, exec_lo, s11
	s_delay_alu instid0(SALU_CYCLE_1)
	s_and_b32 s11, s14, exec_lo
	s_and_b32 s1, s12, exec_lo
	;; [unrolled: 1-line block ×3, first 2 shown]
	s_or_not1_b32 s10, s10, exec_lo
.LBB2_135:                              ;   in Loop: Header=BB2_125 Depth=1
	s_or_b32 exec_lo, exec_lo, s9
	s_delay_alu instid0(SALU_CYCLE_1)
	s_and_not1_b32 s8, s8, exec_lo
	s_and_b32 s11, s11, exec_lo
	s_mov_b32 s9, -1
	s_or_b32 s8, s8, s11
	s_and_saveexec_b32 s11, s10
	s_cbranch_execz .LBB2_124
; %bb.136:                              ;   in Loop: Header=BB2_125 Depth=1
	v_add_nc_u32_e32 v3, s24, v3
	s_and_not1_b32 s8, s8, exec_lo
	s_and_not1_b32 s1, s1, exec_lo
	;; [unrolled: 1-line block ×3, first 2 shown]
	s_delay_alu instid0(VALU_DEP_1)
	v_cmp_le_i32_e32 vcc_lo, s29, v3
	s_or_not1_b32 s9, vcc_lo, exec_lo
	s_branch .LBB2_124
.LBB2_137:
	s_or_b32 exec_lo, exec_lo, s4
	s_mov_b32 s45, 0
	s_mov_b32 s47, s37
	s_and_saveexec_b32 s0, s5
	s_delay_alu instid0(SALU_CYCLE_1)
	s_xor_b32 s44, exec_lo, s0
	s_cbranch_execz .LBB2_145
; %bb.138:
	s_mov_b32 s46, 0
	s_mov_b32 s47, s37
	s_and_saveexec_b32 s0, s3
	s_delay_alu instid0(SALU_CYCLE_1)
	s_xor_b32 s45, exec_lo, s0
	s_cbranch_execz .LBB2_142
; %bb.139:
	s_mov_b32 s0, -1
	s_mov_b32 s1, s37
	s_and_saveexec_b32 s3, s2
	s_delay_alu instid0(SALU_CYCLE_1)
	s_xor_b32 s46, exec_lo, s3
	s_cbranch_execz .LBB2_141
; %bb.140:
	s_add_u32 s8, s22, 48
	s_addc_u32 s9, s23, 0
	s_getpc_b64 s[0:1]
	s_add_u32 s0, s0, .str.8@rel32@lo+4
	s_addc_u32 s1, s1, .str.8@rel32@hi+12
	s_getpc_b64 s[2:3]
	s_add_u32 s2, s2, __PRETTY_FUNCTION__._ZN9rocsolver6v33100L9idx_lowerIiEET_S2_S2_S2_@rel32@lo+4
	s_addc_u32 s3, s3, __PRETTY_FUNCTION__._ZN9rocsolver6v33100L9idx_lowerIiEET_S2_S2_S2_@rel32@hi+12
	v_dual_mov_b32 v0, s0 :: v_dual_mov_b32 v1, s1
	v_dual_mov_b32 v2, 0x51 :: v_dual_mov_b32 v3, s2
	v_mov_b32_e32 v4, s3
	s_getpc_b64 s[4:5]
	s_add_u32 s4, s4, __assert_fail@rel32@lo+4
	s_addc_u32 s5, s5, __assert_fail@rel32@hi+12
	s_delay_alu instid0(SALU_CYCLE_1)
	s_swappc_b64 s[30:31], s[4:5]
	s_or_b32 s1, s37, exec_lo
	s_xor_b32 s0, exec_lo, -1
.LBB2_141:
	s_or_b32 exec_lo, exec_lo, s46
	s_delay_alu instid0(SALU_CYCLE_1)
	s_and_not1_b32 s2, s37, exec_lo
	s_and_b32 s1, s1, exec_lo
	s_and_b32 s46, s0, exec_lo
	s_or_b32 s47, s2, s1
.LBB2_142:
	s_and_not1_saveexec_b32 s45, s45
	s_cbranch_execz .LBB2_144
; %bb.143:
	s_add_u32 s8, s22, 48
	s_addc_u32 s9, s23, 0
	s_getpc_b64 s[0:1]
	s_add_u32 s0, s0, .str.7@rel32@lo+4
	s_addc_u32 s1, s1, .str.7@rel32@hi+12
	s_getpc_b64 s[2:3]
	s_add_u32 s2, s2, __PRETTY_FUNCTION__._ZN9rocsolver6v33100L9idx_lowerIiEET_S2_S2_S2_@rel32@lo+4
	s_addc_u32 s3, s3, __PRETTY_FUNCTION__._ZN9rocsolver6v33100L9idx_lowerIiEET_S2_S2_S2_@rel32@hi+12
	v_dual_mov_b32 v0, s0 :: v_dual_mov_b32 v1, s1
	v_dual_mov_b32 v2, 0x50 :: v_dual_mov_b32 v3, s2
	v_mov_b32_e32 v4, s3
	s_getpc_b64 s[4:5]
	s_add_u32 s4, s4, __assert_fail@rel32@lo+4
	s_addc_u32 s5, s5, __assert_fail@rel32@hi+12
	s_delay_alu instid0(SALU_CYCLE_1)
	s_swappc_b64 s[30:31], s[4:5]
	s_or_b32 s47, s47, exec_lo
.LBB2_144:
	s_or_b32 exec_lo, exec_lo, s45
	s_delay_alu instid0(SALU_CYCLE_1)
	s_and_not1_b32 s0, s37, exec_lo
	s_and_b32 s1, s47, exec_lo
	s_and_b32 s45, s46, exec_lo
	s_or_b32 s47, s0, s1
.LBB2_145:
	s_and_not1_saveexec_b32 s44, s44
	s_cbranch_execz .LBB2_147
; %bb.146:
	s_add_u32 s8, s22, 48
	s_addc_u32 s9, s23, 0
	s_getpc_b64 s[0:1]
	s_add_u32 s0, s0, .str.6@rel32@lo+4
	s_addc_u32 s1, s1, .str.6@rel32@hi+12
	s_getpc_b64 s[2:3]
	s_add_u32 s2, s2, __PRETTY_FUNCTION__._ZN9rocsolver6v33100L9idx_lowerIiEET_S2_S2_S2_@rel32@lo+4
	s_addc_u32 s3, s3, __PRETTY_FUNCTION__._ZN9rocsolver6v33100L9idx_lowerIiEET_S2_S2_S2_@rel32@hi+12
	v_dual_mov_b32 v0, s0 :: v_dual_mov_b32 v1, s1
	v_dual_mov_b32 v2, 0x4f :: v_dual_mov_b32 v3, s2
	v_mov_b32_e32 v4, s3
	s_getpc_b64 s[4:5]
	s_add_u32 s4, s4, __assert_fail@rel32@lo+4
	s_addc_u32 s5, s5, __assert_fail@rel32@hi+12
	s_delay_alu instid0(SALU_CYCLE_1)
	s_swappc_b64 s[30:31], s[4:5]
	s_or_b32 s47, s47, exec_lo
.LBB2_147:
	s_or_b32 exec_lo, exec_lo, s44
	s_delay_alu instid0(SALU_CYCLE_1) | instskip(SKIP_1) | instid1(SALU_CYCLE_1)
	s_and_not1_b32 s0, s37, exec_lo
	s_and_b32 s1, s47, exec_lo
	s_or_b32 s44, s0, s1
	s_or_not1_b32 s1, s45, exec_lo
.LBB2_148:
	s_or_b32 exec_lo, exec_lo, s42
	s_mov_b32 s42, 0
	s_branch .LBB2_109
.LBB2_149:
	s_mov_b32 s1, -1
	s_mov_b32 s43, 0
	s_and_saveexec_b32 s0, s21
	s_cbranch_execz .LBB2_165
; %bb.150:
	v_lshlrev_b32_e32 v0, 2, v43
	v_lshlrev_b32_e32 v1, 2, v42
	s_lshl_b32 s1, s29, 1
	s_mov_b32 s2, 0
	v_sub_nc_u32_e32 v2, s1, v42
	s_lshl_b32 s1, s25, 2
	v_sub_nc_u32_e32 v0, v0, v1
	s_lshl_b32 s4, s24, 2
	s_sub_i32 s5, 0, s1
	v_add_nc_u32_e32 v2, 1, v2
                                        ; implicit-def: $sgpr3
                                        ; implicit-def: $sgpr1
	s_delay_alu instid0(VALU_DEP_2)
	v_add_nc_u32_e32 v3, 0, v0
	s_branch .LBB2_152
.LBB2_151:                              ;   in Loop: Header=BB2_152 Depth=1
	s_or_b32 exec_lo, exec_lo, s9
	s_xor_b32 s7, s10, -1
	s_xor_b32 s8, s8, -1
	s_and_b32 s6, exec_lo, s6
	s_delay_alu instid0(SALU_CYCLE_1)
	s_or_b32 s2, s6, s2
	s_and_not1_b32 s1, s1, exec_lo
	s_and_b32 s6, s7, exec_lo
	s_and_not1_b32 s3, s3, exec_lo
	s_and_b32 s7, s8, exec_lo
	s_or_b32 s1, s1, s6
	s_or_b32 s3, s3, s7
	s_and_not1_b32 exec_lo, exec_lo, s2
	s_cbranch_execz .LBB2_162
.LBB2_152:                              ; =>This Loop Header: Depth=1
                                        ;     Child Loop BB2_156 Depth 2
	s_mov_b32 s7, -1
	s_mov_b32 s6, exec_lo
                                        ; implicit-def: $sgpr8
                                        ; implicit-def: $sgpr10
	v_cmpx_le_i32_e64 v42, v43
	s_cbranch_execz .LBB2_160
; %bb.153:                              ;   in Loop: Header=BB2_152 Depth=1
	v_mad_i64_i32 v[0:1], null, v43, s38, 0
	v_dual_mov_b32 v4, v3 :: v_dual_mov_b32 v5, v2
	s_mov_b32 s8, 0
                                        ; implicit-def: $sgpr7
                                        ; implicit-def: $sgpr11
                                        ; implicit-def: $sgpr9
                                        ; implicit-def: $sgpr13
                                        ; implicit-def: $sgpr10
                                        ; implicit-def: $sgpr12
                                        ; implicit-def: $sgpr14
	s_delay_alu instid0(VALU_DEP_2) | instskip(NEXT) | instid1(VALU_DEP_1)
	v_lshlrev_b64 v[0:1], 2, v[0:1]
	v_add_co_u32 v6, vcc_lo, s28, v0
	s_delay_alu instid0(VALU_DEP_2)
	v_add_co_ci_u32_e32 v7, vcc_lo, s36, v1, vcc_lo
	v_mov_b32_e32 v0, v42
	s_branch .LBB2_156
.LBB2_154:                              ;   in Loop: Header=BB2_156 Depth=2
	s_or_b32 exec_lo, exec_lo, s16
	s_delay_alu instid0(SALU_CYCLE_1)
	s_and_not1_b32 s14, s14, exec_lo
	s_and_b32 s16, s18, exec_lo
	s_and_not1_b32 s13, s13, exec_lo
	s_or_b32 s14, s14, s16
	s_and_b32 s16, s17, exec_lo
	s_and_not1_b32 s12, s12, exec_lo
	s_or_b32 s10, s10, exec_lo
	s_or_b32 s13, s13, s16
.LBB2_155:                              ;   in Loop: Header=BB2_156 Depth=2
	s_or_b32 exec_lo, exec_lo, s15
	s_xor_b32 s15, s14, -1
	s_and_b32 s16, exec_lo, s13
	s_delay_alu instid0(SALU_CYCLE_1)
	s_or_b32 s8, s16, s8
	s_and_not1_b32 s9, s9, exec_lo
	s_and_b32 s16, s12, exec_lo
	s_and_not1_b32 s11, s11, exec_lo
	s_or_b32 s9, s9, s16
	s_and_b32 s16, s10, exec_lo
	s_and_not1_b32 s7, s7, exec_lo
	s_and_b32 s15, s15, exec_lo
	s_or_b32 s11, s11, s16
	s_or_b32 s7, s7, s15
	s_and_not1_b32 exec_lo, exec_lo, s8
	s_cbranch_execz .LBB2_159
.LBB2_156:                              ;   Parent Loop BB2_152 Depth=1
                                        ; =>  This Inner Loop Header: Depth=2
	s_or_b32 s14, s14, exec_lo
	s_or_b32 s12, s12, exec_lo
	s_and_not1_b32 s10, s10, exec_lo
	s_or_b32 s13, s13, exec_lo
	s_mov_b32 s15, exec_lo
	v_cmpx_lt_i32_e32 -1, v0
	s_cbranch_execz .LBB2_155
; %bb.157:                              ;   in Loop: Header=BB2_156 Depth=2
	s_mov_b32 s17, -1
	s_mov_b32 s18, -1
	s_mov_b32 s16, exec_lo
	v_cmpx_ge_u32_e64 v43, v0
	s_cbranch_execz .LBB2_154
; %bb.158:                              ;   in Loop: Header=BB2_156 Depth=2
	v_mul_lo_u32 v1, v5, v0
	v_subrev_nc_u32_e32 v5, s25, v5
	s_xor_b32 s18, exec_lo, -1
	s_delay_alu instid0(VALU_DEP_2) | instskip(NEXT) | instid1(VALU_DEP_1)
	v_lshrrev_b32_e32 v8, 31, v1
	v_add_lshl_u32 v1, v1, v8, 1
	s_delay_alu instid0(VALU_DEP_1) | instskip(NEXT) | instid1(VALU_DEP_1)
	v_and_b32_e32 v1, -4, v1
	v_add_nc_u32_e32 v8, v4, v1
	v_ashrrev_i32_e32 v1, 31, v0
	v_add_nc_u32_e32 v4, s5, v4
	ds_load_b32 v10, v8
	v_lshlrev_b64 v[8:9], 2, v[0:1]
	v_add_nc_u32_e32 v0, s25, v0
	s_delay_alu instid0(VALU_DEP_2) | instskip(NEXT) | instid1(VALU_DEP_3)
	v_add_co_u32 v8, vcc_lo, v6, v8
	v_add_co_ci_u32_e32 v9, vcc_lo, v7, v9, vcc_lo
	s_delay_alu instid0(VALU_DEP_3)
	v_cmp_gt_i32_e32 vcc_lo, v0, v43
	s_or_not1_b32 s17, vcc_lo, exec_lo
	s_waitcnt lgkmcnt(0)
	global_store_b32 v[8:9], v10, off
	s_branch .LBB2_154
.LBB2_159:                              ;   in Loop: Header=BB2_152 Depth=1
	s_or_b32 exec_lo, exec_lo, s8
	s_delay_alu instid0(SALU_CYCLE_1)
	s_and_b32 s10, s11, exec_lo
	s_and_b32 s8, s9, exec_lo
	s_or_not1_b32 s7, s7, exec_lo
.LBB2_160:                              ;   in Loop: Header=BB2_152 Depth=1
	s_or_b32 exec_lo, exec_lo, s6
	s_mov_b32 s6, -1
	s_and_saveexec_b32 s9, s7
	s_cbranch_execz .LBB2_151
; %bb.161:                              ;   in Loop: Header=BB2_152 Depth=1
	v_add_nc_u32_e32 v43, s24, v43
	v_add_nc_u32_e32 v3, s4, v3
	s_and_not1_b32 s10, s10, exec_lo
	s_and_not1_b32 s8, s8, exec_lo
	s_delay_alu instid0(VALU_DEP_2)
	v_cmp_le_i32_e32 vcc_lo, s29, v43
	s_or_not1_b32 s6, vcc_lo, exec_lo
	s_branch .LBB2_151
.LBB2_162:
	s_or_b32 exec_lo, exec_lo, s2
	s_mov_b32 s2, 0
	s_mov_b32 s5, -1
	s_mov_b32 s4, 0
	s_and_saveexec_b32 s6, s3
	s_delay_alu instid0(SALU_CYCLE_1)
	s_xor_b32 s3, exec_lo, s6
; %bb.163:
	s_mov_b32 s4, exec_lo
	s_xor_b32 s5, exec_lo, -1
	s_and_b32 s2, s1, exec_lo
; %bb.164:
	s_or_b32 exec_lo, exec_lo, s3
	s_delay_alu instid0(SALU_CYCLE_1)
	s_and_b32 s42, s5, exec_lo
	s_and_b32 s43, s4, exec_lo
	s_or_not1_b32 s1, s2, exec_lo
.LBB2_165:
	s_or_b32 exec_lo, exec_lo, s0
	s_and_saveexec_b32 s0, s1
	s_cbranch_execz .LBB2_110
.LBB2_166:
	s_waitcnt_vscnt null, 0x0
	s_barrier
	s_and_not1_b32 s43, s43, exec_lo
	buffer_gl0_inv
	s_or_b32 exec_lo, exec_lo, s0
	s_and_saveexec_b32 s0, s43
	s_delay_alu instid0(SALU_CYCLE_1)
	s_xor_b32 s21, exec_lo, s0
	s_cbranch_execz .LBB2_111
.LBB2_167:
	s_add_u32 s8, s22, 48
	s_addc_u32 s9, s23, 0
	s_getpc_b64 s[0:1]
	s_add_u32 s0, s0, .str.8@rel32@lo+4
	s_addc_u32 s1, s1, .str.8@rel32@hi+12
	s_getpc_b64 s[2:3]
	s_add_u32 s2, s2, __PRETTY_FUNCTION__._ZN9rocsolver6v33100L9idx_lowerIiEET_S2_S2_S2_@rel32@lo+4
	s_addc_u32 s3, s3, __PRETTY_FUNCTION__._ZN9rocsolver6v33100L9idx_lowerIiEET_S2_S2_S2_@rel32@hi+12
	v_dual_mov_b32 v0, s0 :: v_dual_mov_b32 v1, s1
	v_dual_mov_b32 v2, 0x51 :: v_dual_mov_b32 v3, s2
	v_mov_b32_e32 v4, s3
	s_getpc_b64 s[4:5]
	s_add_u32 s4, s4, __assert_fail@rel32@lo+4
	s_addc_u32 s5, s5, __assert_fail@rel32@hi+12
	s_delay_alu instid0(SALU_CYCLE_1) | instskip(SKIP_3) | instid1(SALU_CYCLE_1)
	s_swappc_b64 s[30:31], s[4:5]
	s_or_b32 s44, s44, exec_lo
	s_or_b32 exec_lo, exec_lo, s21
	s_and_saveexec_b32 s0, s42
	s_xor_b32 s21, exec_lo, s0
	s_cbranch_execnz .LBB2_112
	s_branch .LBB2_113
	.section	.rodata,"a",@progbits
	.p2align	6, 0x0
	.amdhsa_kernel _ZN9rocsolver6v33100L18potf2_kernel_smallIfiiPfEEvbT0_T2_lS3_lPT1_
		.amdhsa_group_segment_fixed_size 0
		.amdhsa_private_segment_fixed_size 64
		.amdhsa_kernarg_size 304
		.amdhsa_user_sgpr_count 14
		.amdhsa_user_sgpr_dispatch_ptr 0
		.amdhsa_user_sgpr_queue_ptr 0
		.amdhsa_user_sgpr_kernarg_segment_ptr 1
		.amdhsa_user_sgpr_dispatch_id 0
		.amdhsa_user_sgpr_private_segment_size 0
		.amdhsa_wavefront_size32 1
		.amdhsa_uses_dynamic_stack 0
		.amdhsa_enable_private_segment 1
		.amdhsa_system_sgpr_workgroup_id_x 1
		.amdhsa_system_sgpr_workgroup_id_y 0
		.amdhsa_system_sgpr_workgroup_id_z 1
		.amdhsa_system_sgpr_workgroup_info 0
		.amdhsa_system_vgpr_workitem_id 2
		.amdhsa_next_free_vgpr 51
		.amdhsa_next_free_sgpr 48
		.amdhsa_reserve_vcc 1
		.amdhsa_float_round_mode_32 0
		.amdhsa_float_round_mode_16_64 0
		.amdhsa_float_denorm_mode_32 3
		.amdhsa_float_denorm_mode_16_64 3
		.amdhsa_dx10_clamp 1
		.amdhsa_ieee_mode 1
		.amdhsa_fp16_overflow 0
		.amdhsa_workgroup_processor_mode 1
		.amdhsa_memory_ordered 1
		.amdhsa_forward_progress 0
		.amdhsa_shared_vgpr_count 0
		.amdhsa_exception_fp_ieee_invalid_op 0
		.amdhsa_exception_fp_denorm_src 0
		.amdhsa_exception_fp_ieee_div_zero 0
		.amdhsa_exception_fp_ieee_overflow 0
		.amdhsa_exception_fp_ieee_underflow 0
		.amdhsa_exception_fp_ieee_inexact 0
		.amdhsa_exception_int_div_zero 0
	.end_amdhsa_kernel
	.section	.text._ZN9rocsolver6v33100L18potf2_kernel_smallIfiiPfEEvbT0_T2_lS3_lPT1_,"axG",@progbits,_ZN9rocsolver6v33100L18potf2_kernel_smallIfiiPfEEvbT0_T2_lS3_lPT1_,comdat
.Lfunc_end2:
	.size	_ZN9rocsolver6v33100L18potf2_kernel_smallIfiiPfEEvbT0_T2_lS3_lPT1_, .Lfunc_end2-_ZN9rocsolver6v33100L18potf2_kernel_smallIfiiPfEEvbT0_T2_lS3_lPT1_
                                        ; -- End function
	.section	.AMDGPU.csdata,"",@progbits
; Kernel info:
; codeLenInByte = 6880
; NumSgprs: 50
; NumVgprs: 51
; ScratchSize: 64
; MemoryBound: 0
; FloatMode: 240
; IeeeMode: 1
; LDSByteSize: 0 bytes/workgroup (compile time only)
; SGPRBlocks: 6
; VGPRBlocks: 6
; NumSGPRsForWavesPerEU: 50
; NumVGPRsForWavesPerEU: 51
; Occupancy: 16
; WaveLimiterHint : 1
; COMPUTE_PGM_RSRC2:SCRATCH_EN: 1
; COMPUTE_PGM_RSRC2:USER_SGPR: 14
; COMPUTE_PGM_RSRC2:TRAP_HANDLER: 0
; COMPUTE_PGM_RSRC2:TGID_X_EN: 1
; COMPUTE_PGM_RSRC2:TGID_Y_EN: 0
; COMPUTE_PGM_RSRC2:TGID_Z_EN: 1
; COMPUTE_PGM_RSRC2:TIDIG_COMP_CNT: 2
	.section	.text._ZN9rocsolver6v33100L18potf2_kernel_smallIfiiPKPfEEvbT0_T2_lS5_lPT1_,"axG",@progbits,_ZN9rocsolver6v33100L18potf2_kernel_smallIfiiPKPfEEvbT0_T2_lS5_lPT1_,comdat
	.globl	_ZN9rocsolver6v33100L18potf2_kernel_smallIfiiPKPfEEvbT0_T2_lS5_lPT1_ ; -- Begin function _ZN9rocsolver6v33100L18potf2_kernel_smallIfiiPKPfEEvbT0_T2_lS5_lPT1_
	.p2align	8
	.type	_ZN9rocsolver6v33100L18potf2_kernel_smallIfiiPKPfEEvbT0_T2_lS5_lPT1_,@function
_ZN9rocsolver6v33100L18potf2_kernel_smallIfiiPKPfEEvbT0_T2_lS5_lPT1_: ; @_ZN9rocsolver6v33100L18potf2_kernel_smallIfiiPKPfEEvbT0_T2_lS5_lPT1_
; %bb.0:
	s_load_b64 s[34:35], s[0:1], 0x3c
	s_mov_b64 s[22:23], s[0:1]
	v_mov_b32_e32 v41, v0
	s_mov_b32 s26, s15
	s_mov_b32 s32, 0
	s_waitcnt lgkmcnt(0)
	v_cmp_eq_u16_e64 s0, s35, 1
	s_delay_alu instid0(VALU_DEP_1)
	s_and_b32 vcc_lo, exec_lo, s0
	s_cbranch_vccnz .LBB3_2
; %bb.1:
	s_add_u32 s8, s22, 48
	s_addc_u32 s9, s23, 0
	s_getpc_b64 s[0:1]
	s_add_u32 s0, s0, .str@rel32@lo+4
	s_addc_u32 s1, s1, .str@rel32@hi+12
	s_getpc_b64 s[2:3]
	s_add_u32 s2, s2, __PRETTY_FUNCTION__._ZN9rocsolver6v33100L18potf2_kernel_smallIfiiPKPfEEvbT0_T2_lS5_lPT1_@rel32@lo+4
	s_addc_u32 s3, s3, __PRETTY_FUNCTION__._ZN9rocsolver6v33100L18potf2_kernel_smallIfiiPKPfEEvbT0_T2_lS5_lPT1_@rel32@hi+12
	v_dual_mov_b32 v0, s0 :: v_dual_mov_b32 v1, s1
	v_dual_mov_b32 v2, 0x125 :: v_dual_mov_b32 v3, s2
	v_mov_b32_e32 v4, s3
	s_getpc_b64 s[4:5]
	s_add_u32 s4, s4, __assert_fail@rel32@lo+4
	s_addc_u32 s5, s5, __assert_fail@rel32@hi+12
	s_delay_alu instid0(SALU_CYCLE_1)
	s_swappc_b64 s[30:31], s[4:5]
	s_mov_b32 s35, -1
	s_cbranch_execz .LBB3_3
	s_branch .LBB3_65
.LBB3_2:
	s_mov_b32 s35, 0
.LBB3_3:
	s_load_b128 s[0:3], s[22:23], 0x8
	s_waitcnt lgkmcnt(0)
	s_cmp_lg_u64 s[0:1], 0
	s_cbranch_scc0 .LBB3_22
; %bb.4:
	s_load_b64 s[28:29], s[22:23], 0x28
	s_waitcnt lgkmcnt(0)
	s_cmp_lg_u64 s[28:29], 0
	s_cbranch_scc0 .LBB3_23
; %bb.5:
	s_mov_b32 s27, 0
	v_mov_b32_e32 v0, 0
	s_lshl_b64 s[4:5], s[26:27], 3
	s_delay_alu instid0(SALU_CYCLE_1)
	s_add_u32 s0, s0, s4
	s_addc_u32 s1, s1, s5
	global_load_b64 v[0:1], v0, s[0:1]
	s_waitcnt vmcnt(0)
	v_cmp_ne_u64_e32 vcc_lo, 0, v[0:1]
	s_cbranch_vccz .LBB3_24
; %bb.6:
	s_clause 0x1
	s_load_b64 s[24:25], s[22:23], 0x0
	s_load_b32 s36, s[22:23], 0x18
	v_bfe_u32 v43, v41, 10, 10
	s_lshl_b64 s[2:3], s[2:3], 2
	v_and_b32_e32 v42, 0x3ff, v41
	v_add_co_u32 v44, vcc_lo, v0, s2
	v_add_co_ci_u32_e32 v45, vcc_lo, s3, v1, vcc_lo
	s_mov_b32 s0, -1
	s_waitcnt lgkmcnt(0)
	s_waitcnt_vscnt null, 0x0
	s_barrier
	buffer_gl0_inv
	s_bitcmp1_b32 s24, 0
	v_cmp_gt_i32_e64 s21, s25, v43
	s_cselect_b32 s1, -1, 0
	s_lshr_b32 s24, s34, 16
	s_xor_b32 s40, s1, -1
	s_and_b32 s34, s34, 0xffff
	s_and_b32 vcc_lo, exec_lo, s40
	s_cbranch_vccz .LBB3_25
; %bb.7:
	s_mov_b32 s1, -1
	s_and_saveexec_b32 s37, s21
	s_cbranch_execz .LBB3_37
; %bb.8:
	v_lshl_add_u32 v2, v42, 2, 0
	v_mov_b32_e32 v3, v43
	s_lshl_b32 s0, s25, 1
	s_mov_b32 s3, 0
	s_or_b32 s5, s0, 1
	s_lshl_b32 s6, s34, 2
                                        ; implicit-def: $sgpr4
                                        ; implicit-def: $sgpr2
                                        ; implicit-def: $sgpr1
                                        ; implicit-def: $sgpr7
	s_branch .LBB3_10
.LBB3_9:                                ;   in Loop: Header=BB3_10 Depth=1
	s_or_b32 exec_lo, exec_lo, s11
	s_xor_b32 s9, s10, -1
	s_xor_b32 s0, s0, -1
	s_and_b32 s8, exec_lo, s8
	s_delay_alu instid0(SALU_CYCLE_1)
	s_or_b32 s3, s8, s3
	s_and_not1_b32 s1, s1, exec_lo
	s_and_b32 s8, s7, exec_lo
	s_and_not1_b32 s2, s2, exec_lo
	s_or_b32 s1, s1, s8
	s_and_b32 s8, s9, exec_lo
	s_and_not1_b32 s4, s4, exec_lo
	s_and_b32 s0, s0, exec_lo
	s_or_b32 s2, s2, s8
	s_or_b32 s4, s4, s0
	s_and_not1_b32 exec_lo, exec_lo, s3
	s_cbranch_execz .LBB3_26
.LBB3_10:                               ; =>This Loop Header: Depth=1
                                        ;     Child Loop BB3_15 Depth 2
	v_add_nc_u32_e32 v0, v3, v42
	s_mov_b32 s9, -1
	s_mov_b32 s8, exec_lo
                                        ; implicit-def: $sgpr0
                                        ; implicit-def: $sgpr10
                                        ; implicit-def: $sgpr13
	s_delay_alu instid0(VALU_DEP_1)
	v_cmpx_gt_i32_e64 s25, v0
	s_cbranch_execz .LBB3_20
; %bb.11:                               ;   in Loop: Header=BB3_10 Depth=1
	v_sub_nc_u32_e32 v1, s5, v3
	v_mad_i64_i32 v[4:5], null, v3, s36, 0
	v_cmp_lt_i32_e32 vcc_lo, -1, v3
	s_mov_b32 s10, 0
	s_delay_alu instid0(VALU_DEP_3) | instskip(NEXT) | instid1(VALU_DEP_3)
	v_mul_lo_u32 v1, v1, v3
                                        ; implicit-def: $sgpr9
                                        ; implicit-def: $sgpr13
                                        ; implicit-def: $sgpr11
                                        ; implicit-def: $sgpr12
                                        ; implicit-def: $sgpr14
                                        ; implicit-def: $sgpr17
                                        ; implicit-def: $sgpr15
                                        ; implicit-def: $sgpr18
                                        ; implicit-def: $sgpr16
	v_lshlrev_b64 v[4:5], 2, v[4:5]
	s_delay_alu instid0(VALU_DEP_2) | instskip(NEXT) | instid1(VALU_DEP_2)
	v_lshrrev_b32_e32 v6, 31, v1
	v_add_co_u32 v4, s0, v44, v4
	s_delay_alu instid0(VALU_DEP_1) | instskip(NEXT) | instid1(VALU_DEP_3)
	v_add_co_ci_u32_e64 v5, s0, v45, v5, s0
	v_add_lshl_u32 v1, v1, v6, 1
	s_delay_alu instid0(VALU_DEP_1) | instskip(NEXT) | instid1(VALU_DEP_1)
	v_and_b32_e32 v1, -4, v1
	v_add_nc_u32_e32 v6, v2, v1
	s_branch .LBB3_15
.LBB3_12:                               ;   in Loop: Header=BB3_15 Depth=2
	s_or_b32 exec_lo, exec_lo, s31
	s_delay_alu instid0(SALU_CYCLE_1)
	s_mov_b32 s0, exec_lo
	s_or_not1_b32 s38, s33, exec_lo
	s_xor_b32 s33, exec_lo, -1
	s_or_not1_b32 s31, s39, exec_lo
.LBB3_13:                               ;   in Loop: Header=BB3_15 Depth=2
	s_or_b32 exec_lo, exec_lo, s30
	s_delay_alu instid0(SALU_CYCLE_1)
	s_and_not1_b32 s16, s16, exec_lo
	s_and_b32 s30, s38, exec_lo
	s_and_not1_b32 s18, s18, exec_lo
	s_and_b32 s20, s20, exec_lo
	s_or_b32 s16, s16, s30
	s_and_not1_b32 s15, s15, exec_lo
	s_and_b32 s30, s33, exec_lo
	s_or_b32 s18, s18, s20
	s_and_not1_b32 s17, s17, exec_lo
	s_and_b32 s0, s0, exec_lo
	s_and_not1_b32 s14, s14, exec_lo
	s_and_b32 s20, s31, exec_lo
	s_or_b32 s15, s15, s30
	s_or_b32 s17, s17, s0
	;; [unrolled: 1-line block ×3, first 2 shown]
.LBB3_14:                               ;   in Loop: Header=BB3_15 Depth=2
	s_or_b32 exec_lo, exec_lo, s19
	s_xor_b32 s0, s16, -1
	s_and_b32 s19, exec_lo, s14
	s_delay_alu instid0(SALU_CYCLE_1)
	s_or_b32 s10, s19, s10
	s_and_not1_b32 s12, s12, exec_lo
	s_and_b32 s19, s18, exec_lo
	s_and_not1_b32 s11, s11, exec_lo
	s_and_b32 s20, s15, exec_lo
	s_or_b32 s12, s12, s19
	s_and_not1_b32 s13, s13, exec_lo
	s_and_b32 s19, s17, exec_lo
	s_and_not1_b32 s9, s9, exec_lo
	s_and_b32 s0, s0, exec_lo
	s_or_b32 s11, s11, s20
	s_or_b32 s13, s13, s19
	;; [unrolled: 1-line block ×3, first 2 shown]
	s_and_not1_b32 exec_lo, exec_lo, s10
	s_cbranch_execz .LBB3_19
.LBB3_15:                               ;   Parent Loop BB3_10 Depth=1
                                        ; =>  This Inner Loop Header: Depth=2
	s_or_b32 s16, s16, exec_lo
	s_or_b32 s18, s18, exec_lo
	s_and_not1_b32 s15, s15, exec_lo
	s_and_not1_b32 s17, s17, exec_lo
	s_or_b32 s14, s14, exec_lo
	s_mov_b32 s19, exec_lo
	v_cmpx_lt_i32_e32 -1, v0
	s_cbranch_execz .LBB3_14
; %bb.16:                               ;   in Loop: Header=BB3_15 Depth=2
	s_mov_b32 s20, 0
	s_mov_b32 s31, -1
	s_mov_b32 s0, 0
	s_mov_b32 s33, -1
	s_mov_b32 s38, -1
	s_and_saveexec_b32 s30, vcc_lo
	s_cbranch_execz .LBB3_13
; %bb.17:                               ;   in Loop: Header=BB3_15 Depth=2
	s_mov_b32 s39, -1
	s_mov_b32 s31, exec_lo
	v_cmpx_ge_u32_e64 v0, v3
	s_cbranch_execz .LBB3_12
; %bb.18:                               ;   in Loop: Header=BB3_15 Depth=2
	v_ashrrev_i32_e32 v1, 31, v0
	s_xor_b32 s33, exec_lo, -1
	s_delay_alu instid0(VALU_DEP_1) | instskip(SKIP_1) | instid1(VALU_DEP_2)
	v_lshlrev_b64 v[7:8], 2, v[0:1]
	v_add_nc_u32_e32 v0, s34, v0
	v_add_co_u32 v7, s0, v4, v7
	s_delay_alu instid0(VALU_DEP_1) | instskip(NEXT) | instid1(VALU_DEP_3)
	v_add_co_ci_u32_e64 v8, s0, v5, v8, s0
	v_cmp_le_i32_e64 s0, s25, v0
	flat_load_b32 v1, v[7:8]
	s_or_not1_b32 s39, s0, exec_lo
	s_waitcnt vmcnt(0) lgkmcnt(0)
	ds_store_b32 v6, v1
	v_add_nc_u32_e32 v6, s6, v6
	s_branch .LBB3_12
.LBB3_19:                               ;   in Loop: Header=BB3_10 Depth=1
	s_or_b32 exec_lo, exec_lo, s10
	s_delay_alu instid0(SALU_CYCLE_1)
	s_and_b32 s13, s13, exec_lo
	s_and_b32 s10, s11, exec_lo
	;; [unrolled: 1-line block ×3, first 2 shown]
	s_or_not1_b32 s9, s9, exec_lo
.LBB3_20:                               ;   in Loop: Header=BB3_10 Depth=1
	s_or_b32 exec_lo, exec_lo, s8
	s_delay_alu instid0(SALU_CYCLE_1)
	s_and_not1_b32 s7, s7, exec_lo
	s_and_b32 s11, s13, exec_lo
	s_mov_b32 s8, -1
	s_or_b32 s7, s7, s11
	s_and_saveexec_b32 s11, s9
	s_cbranch_execz .LBB3_9
; %bb.21:                               ;   in Loop: Header=BB3_10 Depth=1
	v_add_nc_u32_e32 v3, s24, v3
	s_and_not1_b32 s7, s7, exec_lo
	s_and_not1_b32 s10, s10, exec_lo
	s_and_not1_b32 s0, s0, exec_lo
	s_delay_alu instid0(VALU_DEP_1)
	v_cmp_le_i32_e32 vcc_lo, s25, v3
	s_or_not1_b32 s8, vcc_lo, exec_lo
	s_branch .LBB3_9
.LBB3_22:
	s_cbranch_execnz .LBB3_64
	s_branch .LBB3_65
.LBB3_23:
	s_cbranch_execnz .LBB3_62
	s_branch .LBB3_63
.LBB3_24:
	s_cbranch_execnz .LBB3_60
	s_branch .LBB3_61
.LBB3_25:
	s_mov_b32 s1, s27
	s_mov_b32 s38, 0
	s_and_b32 vcc_lo, exec_lo, s0
	s_mov_b32 s37, 0
	s_cbranch_vccnz .LBB3_38
	s_branch .LBB3_55
.LBB3_26:
	s_or_b32 exec_lo, exec_lo, s3
	s_mov_b32 s39, 0
	s_mov_b32 s42, s35
	s_and_saveexec_b32 s0, s4
	s_delay_alu instid0(SALU_CYCLE_1)
	s_xor_b32 s38, exec_lo, s0
	s_cbranch_execz .LBB3_34
; %bb.27:
	s_mov_b32 s41, 0
	s_mov_b32 s42, s35
	s_and_saveexec_b32 s0, s2
	s_delay_alu instid0(SALU_CYCLE_1)
	s_xor_b32 s39, exec_lo, s0
	s_cbranch_execz .LBB3_31
; %bb.28:
	s_mov_b32 s0, -1
	s_mov_b32 s2, s35
	s_and_saveexec_b32 s3, s1
	s_delay_alu instid0(SALU_CYCLE_1)
	s_xor_b32 s41, exec_lo, s3
	s_cbranch_execz .LBB3_30
; %bb.29:
	s_add_u32 s8, s22, 48
	s_addc_u32 s9, s23, 0
	s_getpc_b64 s[0:1]
	s_add_u32 s0, s0, .str.8@rel32@lo+4
	s_addc_u32 s1, s1, .str.8@rel32@hi+12
	s_getpc_b64 s[2:3]
	s_add_u32 s2, s2, __PRETTY_FUNCTION__._ZN9rocsolver6v33100L9idx_lowerIiEET_S2_S2_S2_@rel32@lo+4
	s_addc_u32 s3, s3, __PRETTY_FUNCTION__._ZN9rocsolver6v33100L9idx_lowerIiEET_S2_S2_S2_@rel32@hi+12
	v_dual_mov_b32 v0, s0 :: v_dual_mov_b32 v1, s1
	v_dual_mov_b32 v2, 0x51 :: v_dual_mov_b32 v3, s2
	v_mov_b32_e32 v4, s3
	s_getpc_b64 s[4:5]
	s_add_u32 s4, s4, __assert_fail@rel32@lo+4
	s_addc_u32 s5, s5, __assert_fail@rel32@hi+12
	s_delay_alu instid0(SALU_CYCLE_1)
	s_swappc_b64 s[30:31], s[4:5]
	s_or_b32 s2, s35, exec_lo
	s_xor_b32 s0, exec_lo, -1
.LBB3_30:
	s_or_b32 exec_lo, exec_lo, s41
	s_delay_alu instid0(SALU_CYCLE_1)
	s_and_not1_b32 s1, s35, exec_lo
	s_and_b32 s2, s2, exec_lo
	s_and_b32 s41, s0, exec_lo
	s_or_b32 s42, s1, s2
.LBB3_31:
	s_and_not1_saveexec_b32 s39, s39
	s_cbranch_execz .LBB3_33
; %bb.32:
	s_add_u32 s8, s22, 48
	s_addc_u32 s9, s23, 0
	s_getpc_b64 s[0:1]
	s_add_u32 s0, s0, .str.7@rel32@lo+4
	s_addc_u32 s1, s1, .str.7@rel32@hi+12
	s_getpc_b64 s[2:3]
	s_add_u32 s2, s2, __PRETTY_FUNCTION__._ZN9rocsolver6v33100L9idx_lowerIiEET_S2_S2_S2_@rel32@lo+4
	s_addc_u32 s3, s3, __PRETTY_FUNCTION__._ZN9rocsolver6v33100L9idx_lowerIiEET_S2_S2_S2_@rel32@hi+12
	v_dual_mov_b32 v0, s0 :: v_dual_mov_b32 v1, s1
	v_dual_mov_b32 v2, 0x50 :: v_dual_mov_b32 v3, s2
	v_mov_b32_e32 v4, s3
	s_getpc_b64 s[4:5]
	s_add_u32 s4, s4, __assert_fail@rel32@lo+4
	s_addc_u32 s5, s5, __assert_fail@rel32@hi+12
	s_delay_alu instid0(SALU_CYCLE_1)
	s_swappc_b64 s[30:31], s[4:5]
	s_or_b32 s42, s42, exec_lo
.LBB3_33:
	s_or_b32 exec_lo, exec_lo, s39
	s_delay_alu instid0(SALU_CYCLE_1)
	s_and_not1_b32 s0, s35, exec_lo
	s_and_b32 s1, s42, exec_lo
	s_and_b32 s39, s41, exec_lo
	s_or_b32 s42, s0, s1
.LBB3_34:
	s_and_not1_saveexec_b32 s38, s38
	s_cbranch_execz .LBB3_36
; %bb.35:
	s_add_u32 s8, s22, 48
	s_addc_u32 s9, s23, 0
	s_getpc_b64 s[0:1]
	s_add_u32 s0, s0, .str.6@rel32@lo+4
	s_addc_u32 s1, s1, .str.6@rel32@hi+12
	s_getpc_b64 s[2:3]
	s_add_u32 s2, s2, __PRETTY_FUNCTION__._ZN9rocsolver6v33100L9idx_lowerIiEET_S2_S2_S2_@rel32@lo+4
	s_addc_u32 s3, s3, __PRETTY_FUNCTION__._ZN9rocsolver6v33100L9idx_lowerIiEET_S2_S2_S2_@rel32@hi+12
	v_dual_mov_b32 v0, s0 :: v_dual_mov_b32 v1, s1
	v_dual_mov_b32 v2, 0x4f :: v_dual_mov_b32 v3, s2
	v_mov_b32_e32 v4, s3
	s_getpc_b64 s[4:5]
	s_add_u32 s4, s4, __assert_fail@rel32@lo+4
	s_addc_u32 s5, s5, __assert_fail@rel32@hi+12
	s_delay_alu instid0(SALU_CYCLE_1)
	s_swappc_b64 s[30:31], s[4:5]
	s_or_b32 s42, s42, exec_lo
.LBB3_36:
	s_or_b32 exec_lo, exec_lo, s38
	s_delay_alu instid0(SALU_CYCLE_1) | instskip(SKIP_1) | instid1(SALU_CYCLE_1)
	s_and_not1_b32 s0, s35, exec_lo
	s_and_b32 s1, s42, exec_lo
	s_or_b32 s35, s0, s1
	s_or_not1_b32 s1, s39, exec_lo
.LBB3_37:
	s_or_b32 exec_lo, exec_lo, s37
	s_mov_b32 s38, 0
	s_mov_b32 s37, 0
	s_branch .LBB3_55
.LBB3_38:
	s_mov_b32 s1, -1
	s_and_saveexec_b32 s0, s21
	s_cbranch_execz .LBB3_54
; %bb.39:
	v_lshlrev_b32_e32 v0, 2, v43
	v_dual_mov_b32 v4, v43 :: v_dual_lshlrev_b32 v1, 2, v42
	s_lshl_b32 s1, s25, 1
	s_lshl_b32 s2, s34, 2
	v_sub_nc_u32_e32 v2, s1, v42
	s_delay_alu instid0(VALU_DEP_2)
	v_sub_nc_u32_e32 v0, v0, v1
	s_mov_b32 s1, 0
	s_lshl_b32 s4, s24, 2
	s_sub_i32 s5, 0, s2
	v_add_nc_u32_e32 v2, 1, v2
	v_add_nc_u32_e32 v3, 0, v0
                                        ; implicit-def: $sgpr3
                                        ; implicit-def: $sgpr2
	s_branch .LBB3_41
.LBB3_40:                               ;   in Loop: Header=BB3_41 Depth=1
	s_or_b32 exec_lo, exec_lo, s9
	s_xor_b32 s7, s10, -1
	s_xor_b32 s8, s8, -1
	s_and_b32 s6, exec_lo, s6
	s_delay_alu instid0(SALU_CYCLE_1)
	s_or_b32 s1, s6, s1
	s_and_not1_b32 s2, s2, exec_lo
	s_and_b32 s6, s7, exec_lo
	s_and_not1_b32 s3, s3, exec_lo
	s_and_b32 s7, s8, exec_lo
	s_or_b32 s2, s2, s6
	s_or_b32 s3, s3, s7
	s_and_not1_b32 exec_lo, exec_lo, s1
	s_cbranch_execz .LBB3_51
.LBB3_41:                               ; =>This Loop Header: Depth=1
                                        ;     Child Loop BB3_45 Depth 2
	s_mov_b32 s7, -1
	s_mov_b32 s6, exec_lo
                                        ; implicit-def: $sgpr8
                                        ; implicit-def: $sgpr10
	v_cmpx_le_i32_e64 v42, v4
	s_cbranch_execz .LBB3_49
; %bb.42:                               ;   in Loop: Header=BB3_41 Depth=1
	v_mad_i64_i32 v[0:1], null, v4, s36, 0
	v_dual_mov_b32 v5, v3 :: v_dual_mov_b32 v6, v2
	s_mov_b32 s8, 0
                                        ; implicit-def: $sgpr7
                                        ; implicit-def: $sgpr11
                                        ; implicit-def: $sgpr9
                                        ; implicit-def: $sgpr13
                                        ; implicit-def: $sgpr10
                                        ; implicit-def: $sgpr12
                                        ; implicit-def: $sgpr14
	s_delay_alu instid0(VALU_DEP_2) | instskip(NEXT) | instid1(VALU_DEP_1)
	v_lshlrev_b64 v[0:1], 2, v[0:1]
	v_add_co_u32 v7, vcc_lo, v44, v0
	s_delay_alu instid0(VALU_DEP_2)
	v_add_co_ci_u32_e32 v8, vcc_lo, v45, v1, vcc_lo
	v_mov_b32_e32 v0, v42
	s_branch .LBB3_45
.LBB3_43:                               ;   in Loop: Header=BB3_45 Depth=2
	s_or_b32 exec_lo, exec_lo, s16
	s_delay_alu instid0(SALU_CYCLE_1)
	s_and_not1_b32 s14, s14, exec_lo
	s_and_b32 s16, s18, exec_lo
	s_and_not1_b32 s13, s13, exec_lo
	s_or_b32 s14, s14, s16
	s_and_b32 s16, s17, exec_lo
	s_and_not1_b32 s12, s12, exec_lo
	s_or_b32 s10, s10, exec_lo
	s_or_b32 s13, s13, s16
.LBB3_44:                               ;   in Loop: Header=BB3_45 Depth=2
	s_or_b32 exec_lo, exec_lo, s15
	s_xor_b32 s15, s14, -1
	s_and_b32 s16, exec_lo, s13
	s_delay_alu instid0(SALU_CYCLE_1)
	s_or_b32 s8, s16, s8
	s_and_not1_b32 s9, s9, exec_lo
	s_and_b32 s16, s12, exec_lo
	s_and_not1_b32 s11, s11, exec_lo
	s_or_b32 s9, s9, s16
	s_and_b32 s16, s10, exec_lo
	s_and_not1_b32 s7, s7, exec_lo
	s_and_b32 s15, s15, exec_lo
	s_or_b32 s11, s11, s16
	s_or_b32 s7, s7, s15
	s_and_not1_b32 exec_lo, exec_lo, s8
	s_cbranch_execz .LBB3_48
.LBB3_45:                               ;   Parent Loop BB3_41 Depth=1
                                        ; =>  This Inner Loop Header: Depth=2
	s_or_b32 s14, s14, exec_lo
	s_or_b32 s12, s12, exec_lo
	s_and_not1_b32 s10, s10, exec_lo
	s_or_b32 s13, s13, exec_lo
	s_mov_b32 s15, exec_lo
	v_cmpx_lt_i32_e32 -1, v0
	s_cbranch_execz .LBB3_44
; %bb.46:                               ;   in Loop: Header=BB3_45 Depth=2
	s_mov_b32 s17, -1
	s_mov_b32 s18, -1
	s_mov_b32 s16, exec_lo
	v_cmpx_ge_u32_e64 v4, v0
	s_cbranch_execz .LBB3_43
; %bb.47:                               ;   in Loop: Header=BB3_45 Depth=2
	v_ashrrev_i32_e32 v1, 31, v0
	s_xor_b32 s18, exec_lo, -1
	s_delay_alu instid0(VALU_DEP_1) | instskip(NEXT) | instid1(VALU_DEP_1)
	v_lshlrev_b64 v[9:10], 2, v[0:1]
	v_add_co_u32 v9, vcc_lo, v7, v9
	s_delay_alu instid0(VALU_DEP_2) | instskip(SKIP_4) | instid1(VALU_DEP_2)
	v_add_co_ci_u32_e32 v10, vcc_lo, v8, v10, vcc_lo
	flat_load_b32 v1, v[9:10]
	v_mul_lo_u32 v9, v6, v0
	v_add_nc_u32_e32 v0, s34, v0
	v_subrev_nc_u32_e32 v6, s34, v6
	v_cmp_gt_i32_e32 vcc_lo, v0, v4
	s_delay_alu instid0(VALU_DEP_4) | instskip(SKIP_1) | instid1(VALU_DEP_1)
	v_lshrrev_b32_e32 v10, 31, v9
	s_or_not1_b32 s17, vcc_lo, exec_lo
	v_add_lshl_u32 v9, v9, v10, 1
	s_delay_alu instid0(VALU_DEP_1) | instskip(NEXT) | instid1(VALU_DEP_1)
	v_and_b32_e32 v9, -4, v9
	v_add_nc_u32_e32 v9, v5, v9
	v_add_nc_u32_e32 v5, s5, v5
	s_waitcnt vmcnt(0) lgkmcnt(0)
	ds_store_b32 v9, v1
	s_branch .LBB3_43
.LBB3_48:                               ;   in Loop: Header=BB3_41 Depth=1
	s_or_b32 exec_lo, exec_lo, s8
	s_delay_alu instid0(SALU_CYCLE_1)
	s_and_b32 s10, s11, exec_lo
	s_and_b32 s8, s9, exec_lo
	s_or_not1_b32 s7, s7, exec_lo
.LBB3_49:                               ;   in Loop: Header=BB3_41 Depth=1
	s_or_b32 exec_lo, exec_lo, s6
	s_mov_b32 s6, -1
	s_and_saveexec_b32 s9, s7
	s_cbranch_execz .LBB3_40
; %bb.50:                               ;   in Loop: Header=BB3_41 Depth=1
	v_add_nc_u32_e32 v4, s24, v4
	v_add_nc_u32_e32 v3, s4, v3
	s_and_not1_b32 s10, s10, exec_lo
	s_and_not1_b32 s8, s8, exec_lo
	s_delay_alu instid0(VALU_DEP_2)
	v_cmp_le_i32_e32 vcc_lo, s25, v4
	s_or_not1_b32 s6, vcc_lo, exec_lo
	s_branch .LBB3_40
.LBB3_51:
	s_or_b32 exec_lo, exec_lo, s1
	s_mov_b32 s1, 0
	s_mov_b32 s5, -1
	s_mov_b32 s4, 0
	s_and_saveexec_b32 s6, s3
	s_delay_alu instid0(SALU_CYCLE_1)
	s_xor_b32 s3, exec_lo, s6
; %bb.52:
	s_mov_b32 s4, exec_lo
	s_xor_b32 s5, exec_lo, -1
	s_and_b32 s1, s2, exec_lo
; %bb.53:
	s_or_b32 exec_lo, exec_lo, s3
	s_delay_alu instid0(SALU_CYCLE_1)
	s_and_b32 s37, s5, exec_lo
	s_and_b32 s38, s4, exec_lo
	s_or_not1_b32 s1, s1, exec_lo
.LBB3_54:
	s_or_b32 exec_lo, exec_lo, s0
.LBB3_55:
	s_and_saveexec_b32 s39, s1
	s_cbranch_execnz .LBB3_68
; %bb.56:
	s_or_b32 exec_lo, exec_lo, s39
	s_and_saveexec_b32 s0, s38
	s_delay_alu instid0(SALU_CYCLE_1)
	s_xor_b32 s21, exec_lo, s0
	s_cbranch_execnz .LBB3_123
.LBB3_57:
	s_or_b32 exec_lo, exec_lo, s21
	s_and_saveexec_b32 s0, s37
	s_delay_alu instid0(SALU_CYCLE_1)
	s_xor_b32 s21, exec_lo, s0
	s_cbranch_execz .LBB3_59
.LBB3_58:
	s_add_u32 s8, s22, 48
	s_addc_u32 s9, s23, 0
	s_getpc_b64 s[0:1]
	s_add_u32 s0, s0, .str.7@rel32@lo+4
	s_addc_u32 s1, s1, .str.7@rel32@hi+12
	s_getpc_b64 s[2:3]
	s_add_u32 s2, s2, __PRETTY_FUNCTION__._ZN9rocsolver6v33100L9idx_lowerIiEET_S2_S2_S2_@rel32@lo+4
	s_addc_u32 s3, s3, __PRETTY_FUNCTION__._ZN9rocsolver6v33100L9idx_lowerIiEET_S2_S2_S2_@rel32@hi+12
	v_dual_mov_b32 v0, s0 :: v_dual_mov_b32 v1, s1
	v_dual_mov_b32 v2, 0x50 :: v_dual_mov_b32 v3, s2
	v_mov_b32_e32 v4, s3
	s_getpc_b64 s[4:5]
	s_add_u32 s4, s4, __assert_fail@rel32@lo+4
	s_addc_u32 s5, s5, __assert_fail@rel32@hi+12
	s_delay_alu instid0(SALU_CYCLE_1)
	s_swappc_b64 s[30:31], s[4:5]
	s_or_b32 s35, s35, exec_lo
.LBB3_59:
	s_or_b32 exec_lo, exec_lo, s21
	s_branch .LBB3_61
.LBB3_60:
	s_add_u32 s8, s22, 48
	s_addc_u32 s9, s23, 0
	s_getpc_b64 s[0:1]
	s_add_u32 s0, s0, .str.4@rel32@lo+4
	s_addc_u32 s1, s1, .str.4@rel32@hi+12
	s_getpc_b64 s[2:3]
	s_add_u32 s2, s2, __PRETTY_FUNCTION__._ZN9rocsolver6v33100L18potf2_kernel_smallIfiiPKPfEEvbT0_T2_lS5_lPT1_@rel32@lo+4
	s_addc_u32 s3, s3, __PRETTY_FUNCTION__._ZN9rocsolver6v33100L18potf2_kernel_smallIfiiPKPfEEvbT0_T2_lS5_lPT1_@rel32@hi+12
	v_dual_mov_b32 v0, s0 :: v_dual_mov_b32 v1, s1
	v_dual_mov_b32 v2, 0x131 :: v_dual_mov_b32 v3, s2
	v_mov_b32_e32 v4, s3
	s_getpc_b64 s[4:5]
	s_add_u32 s4, s4, __assert_fail@rel32@lo+4
	s_addc_u32 s5, s5, __assert_fail@rel32@hi+12
	s_delay_alu instid0(SALU_CYCLE_1)
	s_swappc_b64 s[30:31], s[4:5]
	s_or_b32 s35, s35, exec_lo
.LBB3_61:
	s_branch .LBB3_63
.LBB3_62:
	s_add_u32 s8, s22, 48
	s_addc_u32 s9, s23, 0
	s_getpc_b64 s[0:1]
	s_add_u32 s0, s0, .str.3@rel32@lo+4
	s_addc_u32 s1, s1, .str.3@rel32@hi+12
	s_getpc_b64 s[2:3]
	s_add_u32 s2, s2, __PRETTY_FUNCTION__._ZN9rocsolver6v33100L18potf2_kernel_smallIfiiPKPfEEvbT0_T2_lS5_lPT1_@rel32@lo+4
	s_addc_u32 s3, s3, __PRETTY_FUNCTION__._ZN9rocsolver6v33100L18potf2_kernel_smallIfiiPKPfEEvbT0_T2_lS5_lPT1_@rel32@hi+12
	v_dual_mov_b32 v0, s0 :: v_dual_mov_b32 v1, s1
	v_dual_mov_b32 v2, 0x12c :: v_dual_mov_b32 v3, s2
	v_mov_b32_e32 v4, s3
	s_getpc_b64 s[4:5]
	s_add_u32 s4, s4, __assert_fail@rel32@lo+4
	s_addc_u32 s5, s5, __assert_fail@rel32@hi+12
	s_delay_alu instid0(SALU_CYCLE_1)
	s_swappc_b64 s[30:31], s[4:5]
	s_or_b32 s35, s35, exec_lo
.LBB3_63:
	s_branch .LBB3_65
.LBB3_64:
	s_add_u32 s8, s22, 48
	s_addc_u32 s9, s23, 0
	s_getpc_b64 s[0:1]
	s_add_u32 s0, s0, .str.2@rel32@lo+4
	s_addc_u32 s1, s1, .str.2@rel32@hi+12
	s_getpc_b64 s[2:3]
	s_add_u32 s2, s2, __PRETTY_FUNCTION__._ZN9rocsolver6v33100L18potf2_kernel_smallIfiiPKPfEEvbT0_T2_lS5_lPT1_@rel32@lo+4
	s_addc_u32 s3, s3, __PRETTY_FUNCTION__._ZN9rocsolver6v33100L18potf2_kernel_smallIfiiPKPfEEvbT0_T2_lS5_lPT1_@rel32@hi+12
	v_dual_mov_b32 v0, s0 :: v_dual_mov_b32 v1, s1
	v_dual_mov_b32 v2, 0x12b :: v_dual_mov_b32 v3, s2
	v_mov_b32_e32 v4, s3
	s_getpc_b64 s[4:5]
	s_add_u32 s4, s4, __assert_fail@rel32@lo+4
	s_addc_u32 s5, s5, __assert_fail@rel32@hi+12
	s_delay_alu instid0(SALU_CYCLE_1)
	s_swappc_b64 s[30:31], s[4:5]
	s_or_b32 s35, s35, exec_lo
.LBB3_65:
	s_delay_alu instid0(SALU_CYCLE_1)
	s_and_saveexec_b32 s0, s35
; %bb.66:
	; divergent unreachable
; %bb.67:
	s_endpgm
.LBB3_68:
	s_cmp_gt_i32 s25, 0
	s_mov_b32 s4, 0
	s_waitcnt lgkmcnt(0)
	s_waitcnt_vscnt null, 0x0
	s_barrier
	buffer_gl0_inv
	s_cbranch_scc0 .LBB3_110
; %bb.69:
	v_bfe_u32 v0, v41, 20, 10
	s_mul_i32 s5, s24, s34
	v_mul_u32_u24_e32 v2, s34, v43
	s_lshl_b64 s[0:1], s[26:27], 2
	v_lshlrev_b32_e32 v3, 2, v43
	v_mul_lo_u32 v1, s5, v0
	s_add_u32 s2, s28, s0
	s_addc_u32 s3, s29, s1
	s_lshl_b32 s0, s25, 1
	v_lshl_add_u32 v0, v42, 2, 0
	s_or_b32 s9, s0, 1
	s_lshl_b32 s8, s5, 2
	s_lshl_b32 s10, s24, 2
	v_add3_u32 v1, v2, v42, v1
	v_sub_nc_u32_e32 v2, 0, v3
	v_mov_b32_e32 v3, 0
	s_lshl_b32 s11, s34, 2
	s_mov_b32 s13, 0
	v_cmp_eq_u32_e64 s0, 0, v1
                                        ; implicit-def: $sgpr12
                                        ; implicit-def: $sgpr7
                                        ; implicit-def: $sgpr6
	s_branch .LBB3_71
.LBB3_70:                               ;   in Loop: Header=BB3_71 Depth=1
	s_or_b32 exec_lo, exec_lo, s16
	s_xor_b32 s14, s20, -1
	s_xor_b32 s15, s18, -1
	s_xor_b32 s16, s19, -1
	s_and_b32 s1, exec_lo, s1
	s_delay_alu instid0(SALU_CYCLE_1)
	s_or_b32 s4, s1, s4
	s_and_not1_b32 s1, s6, exec_lo
	s_and_b32 s6, s14, exec_lo
	s_and_not1_b32 s12, s12, exec_lo
	s_or_b32 s6, s1, s6
	s_and_not1_b32 s1, s7, exec_lo
	s_and_b32 s7, s15, exec_lo
	s_and_b32 s14, s16, exec_lo
	s_or_b32 s7, s1, s7
	s_or_b32 s12, s12, s14
	s_and_not1_b32 exec_lo, exec_lo, s4
	s_cbranch_execz .LBB3_105
.LBB3_71:                               ; =>This Loop Header: Depth=1
                                        ;     Child Loop BB3_83 Depth 2
                                        ;     Child Loop BB3_93 Depth 2
                                        ;       Child Loop BB3_97 Depth 3
	s_sub_i32 s1, s9, s13
	s_mov_b32 s15, 0
	s_mul_i32 s1, s1, s13
	s_delay_alu instid0(SALU_CYCLE_1) | instskip(NEXT) | instid1(SALU_CYCLE_1)
	s_lshr_b32 s14, s1, 31
	s_add_i32 s1, s1, s14
	s_delay_alu instid0(SALU_CYCLE_1) | instskip(SKIP_2) | instid1(SALU_CYCLE_1)
	s_ashr_i32 s27, s1, 1
	s_mov_b32 s1, -1
	s_lshl_b32 s16, s27, 2
	s_add_i32 s17, s16, 0
	s_delay_alu instid0(SALU_CYCLE_1) | instskip(SKIP_3) | instid1(VALU_DEP_1)
	v_mov_b32_e32 v4, s17
	ds_load_b32 v4, v4
	s_waitcnt lgkmcnt(0)
	v_cmp_class_f32_e64 s14, v4, 0x180
	s_and_b32 vcc_lo, exec_lo, s14
	s_cbranch_vccnz .LBB3_76
; %bb.72:                               ;   in Loop: Header=BB3_71 Depth=1
	s_and_saveexec_b32 s1, s0
	s_cbranch_execz .LBB3_75
; %bb.73:                               ;   in Loop: Header=BB3_71 Depth=1
	global_load_b32 v5, v3, s[2:3]
	s_waitcnt vmcnt(0)
	v_cmp_ne_u32_e32 vcc_lo, 0, v5
	s_cbranch_vccnz .LBB3_75
; %bb.74:                               ;   in Loop: Header=BB3_71 Depth=1
	s_add_i32 s15, s13, 1
	s_delay_alu instid0(SALU_CYCLE_1)
	v_mov_b32_e32 v5, s15
	global_store_b32 v3, v5, s[2:3]
.LBB3_75:                               ;   in Loop: Header=BB3_71 Depth=1
	s_or_b32 exec_lo, exec_lo, s1
	s_mov_b32 s1, 0
	s_mov_b32 s15, -1
.LBB3_76:                               ;   in Loop: Header=BB3_71 Depth=1
	s_and_not1_b32 vcc_lo, exec_lo, s1
	s_cbranch_vccnz .LBB3_86
; %bb.77:                               ;   in Loop: Header=BB3_71 Depth=1
	v_mul_f32_e32 v5, 0x4f800000, v4
	v_cmp_gt_f32_e32 vcc_lo, 0xf800000, v4
	s_delay_alu instid0(VALU_DEP_2) | instskip(NEXT) | instid1(VALU_DEP_1)
	v_cndmask_b32_e32 v4, v4, v5, vcc_lo
	v_sqrt_f32_e32 v5, v4
	s_waitcnt_depctr 0xfff
	v_add_nc_u32_e32 v6, -1, v5
	v_add_nc_u32_e32 v7, 1, v5
	s_delay_alu instid0(VALU_DEP_2) | instskip(NEXT) | instid1(VALU_DEP_2)
	v_fma_f32 v8, -v6, v5, v4
	v_fma_f32 v9, -v7, v5, v4
	s_delay_alu instid0(VALU_DEP_2) | instskip(NEXT) | instid1(VALU_DEP_1)
	v_cmp_ge_f32_e64 s1, 0, v8
	v_cndmask_b32_e64 v5, v5, v6, s1
	s_delay_alu instid0(VALU_DEP_3) | instskip(NEXT) | instid1(VALU_DEP_1)
	v_cmp_lt_f32_e64 s1, 0, v9
	v_cndmask_b32_e64 v5, v5, v7, s1
	s_delay_alu instid0(VALU_DEP_1) | instskip(NEXT) | instid1(VALU_DEP_1)
	v_mul_f32_e32 v6, 0x37800000, v5
	v_cndmask_b32_e32 v5, v5, v6, vcc_lo
	v_cmp_class_f32_e64 vcc_lo, v4, 0x260
	s_delay_alu instid0(VALU_DEP_2)
	v_cndmask_b32_e32 v4, v5, v4, vcc_lo
	s_and_saveexec_b32 s1, s0
	s_cbranch_execz .LBB3_79
; %bb.78:                               ;   in Loop: Header=BB3_71 Depth=1
	v_mov_b32_e32 v5, s17
	ds_store_b32 v5, v4
.LBB3_79:                               ;   in Loop: Header=BB3_71 Depth=1
	s_or_b32 exec_lo, exec_lo, s1
	s_add_i32 s1, s13, 1
	s_mov_b32 s28, -1
	v_add_nc_u32_e32 v5, s1, v1
	s_mov_b32 s26, exec_lo
	s_waitcnt lgkmcnt(0)
	s_waitcnt_vscnt null, 0x0
	s_barrier
	buffer_gl0_inv
                                        ; implicit-def: $sgpr19
                                        ; implicit-def: $sgpr18
                                        ; implicit-def: $sgpr20
	v_cmpx_gt_i32_e64 s25, v5
	s_cbranch_execz .LBB3_88
; %bb.80:                               ;   in Loop: Header=BB3_71 Depth=1
	v_add_lshl_u32 v6, v1, s27, 2
	s_mov_b32 s18, 0
	s_mov_b32 s19, 0
                                        ; implicit-def: $sgpr27
                                        ; implicit-def: $sgpr20
                                        ; implicit-def: $sgpr28
                                        ; implicit-def: $sgpr29
                                        ; implicit-def: $sgpr33
                                        ; implicit-def: $sgpr30
                                        ; implicit-def: $sgpr31
                                        ; implicit-def: $sgpr41
	s_delay_alu instid0(VALU_DEP_1)
	v_add3_u32 v6, 0, 4, v6
	s_branch .LBB3_83
.LBB3_81:                               ;   in Loop: Header=BB3_83 Depth=2
	s_or_b32 exec_lo, exec_lo, s43
	s_delay_alu instid0(SALU_CYCLE_1)
	s_and_not1_b32 s41, s41, exec_lo
	s_and_b32 s43, s45, exec_lo
	s_and_not1_b32 s33, s33, exec_lo
	s_or_b32 s41, s41, s43
	s_and_b32 s43, s44, exec_lo
	s_and_not1_b32 s31, s31, exec_lo
	s_or_b32 s30, s30, exec_lo
	s_or_b32 s33, s33, s43
.LBB3_82:                               ;   in Loop: Header=BB3_83 Depth=2
	s_or_b32 exec_lo, exec_lo, s42
	s_xor_b32 s42, s41, -1
	s_and_b32 s43, exec_lo, s33
	s_delay_alu instid0(SALU_CYCLE_1)
	s_or_b32 s19, s43, s19
	s_and_not1_b32 s29, s29, exec_lo
	s_and_b32 s43, s31, exec_lo
	s_and_not1_b32 s28, s28, exec_lo
	s_and_b32 s44, s30, exec_lo
	s_or_b32 s29, s29, s43
	s_and_not1_b32 s20, s20, exec_lo
	s_and_b32 s43, s18, exec_lo
	s_and_not1_b32 s27, s27, exec_lo
	s_and_b32 s42, s42, exec_lo
	s_or_b32 s28, s28, s44
	s_or_b32 s20, s20, s43
	;; [unrolled: 1-line block ×3, first 2 shown]
	s_and_not1_b32 exec_lo, exec_lo, s19
	s_cbranch_execz .LBB3_87
.LBB3_83:                               ;   Parent Loop BB3_71 Depth=1
                                        ; =>  This Inner Loop Header: Depth=2
	s_or_b32 s41, s41, exec_lo
	s_or_b32 s31, s31, exec_lo
	s_and_not1_b32 s30, s30, exec_lo
	s_or_b32 s33, s33, exec_lo
	s_mov_b32 s42, exec_lo
	v_cmpx_lt_i32_e32 -1, v5
	s_cbranch_execz .LBB3_82
; %bb.84:                               ;   in Loop: Header=BB3_83 Depth=2
	s_mov_b32 s44, -1
	s_mov_b32 s45, -1
	s_mov_b32 s43, exec_lo
	v_cmpx_le_u32_e64 s13, v5
	s_cbranch_execz .LBB3_81
; %bb.85:                               ;   in Loop: Header=BB3_83 Depth=2
	ds_load_b32 v7, v6
	v_add_nc_u32_e32 v5, s5, v5
	s_xor_b32 s45, exec_lo, -1
	s_waitcnt lgkmcnt(0)
	v_div_scale_f32 v8, null, v4, v4, v7
	v_div_scale_f32 v11, vcc_lo, v7, v4, v7
	s_delay_alu instid0(VALU_DEP_2) | instskip(SKIP_2) | instid1(VALU_DEP_1)
	v_rcp_f32_e32 v9, v8
	s_waitcnt_depctr 0xfff
	v_fma_f32 v10, -v8, v9, 1.0
	v_fmac_f32_e32 v9, v10, v9
	s_delay_alu instid0(VALU_DEP_1) | instskip(NEXT) | instid1(VALU_DEP_1)
	v_mul_f32_e32 v10, v11, v9
	v_fma_f32 v12, -v8, v10, v11
	s_delay_alu instid0(VALU_DEP_1) | instskip(NEXT) | instid1(VALU_DEP_1)
	v_fmac_f32_e32 v10, v12, v9
	v_fma_f32 v8, -v8, v10, v11
	s_delay_alu instid0(VALU_DEP_1) | instskip(SKIP_1) | instid1(VALU_DEP_2)
	v_div_fmas_f32 v8, v8, v9, v10
	v_cmp_le_i32_e32 vcc_lo, s25, v5
	v_div_fixup_f32 v7, v8, v4, v7
	s_or_not1_b32 s44, vcc_lo, exec_lo
	ds_store_b32 v6, v7
	v_add_nc_u32_e32 v6, s8, v6
	s_branch .LBB3_81
.LBB3_86:                               ;   in Loop: Header=BB3_71 Depth=1
                                        ; implicit-def: $sgpr19
                                        ; implicit-def: $sgpr18
                                        ; implicit-def: $sgpr20
	s_mov_b32 s1, -1
	s_and_saveexec_b32 s16, s15
	s_cbranch_execz .LBB3_70
	s_branch .LBB3_104
.LBB3_87:                               ;   in Loop: Header=BB3_71 Depth=1
	s_or_b32 exec_lo, exec_lo, s19
	s_delay_alu instid0(SALU_CYCLE_1)
	s_and_b32 s20, s20, exec_lo
	s_and_b32 s18, s28, exec_lo
	;; [unrolled: 1-line block ×3, first 2 shown]
	s_or_not1_b32 s28, s27, exec_lo
.LBB3_88:                               ;   in Loop: Header=BB3_71 Depth=1
	s_or_b32 exec_lo, exec_lo, s26
	s_and_saveexec_b32 s26, s28
	s_delay_alu instid0(SALU_CYCLE_1)
	s_xor_b32 s26, exec_lo, s26
	s_cbranch_execz .LBB3_103
; %bb.89:                               ;   in Loop: Header=BB3_71 Depth=1
	v_add_nc_u32_e32 v4, s1, v43
	s_mov_b32 s29, -1
	s_mov_b32 s27, exec_lo
	s_waitcnt lgkmcnt(0)
	s_barrier
	buffer_gl0_inv
                                        ; implicit-def: $sgpr30
                                        ; implicit-def: $sgpr28
	v_cmpx_gt_i32_e64 s25, v4
	s_cbranch_execz .LBB3_100
; %bb.90:                               ;   in Loop: Header=BB3_71 Depth=1
	v_dual_mov_b32 v6, v2 :: v_dual_add_nc_u32 v5, s1, v42
	s_mov_b32 s28, 0
                                        ; implicit-def: $sgpr29
                                        ; implicit-def: $sgpr31
                                        ; implicit-def: $sgpr30
	s_delay_alu instid0(VALU_DEP_1)
	v_cmp_gt_i32_e32 vcc_lo, s25, v5
	s_branch .LBB3_93
.LBB3_91:                               ;   in Loop: Header=BB3_93 Depth=2
	s_or_b32 exec_lo, exec_lo, s41
	v_add_nc_u32_e32 v4, s24, v4
	v_subrev_nc_u32_e32 v6, s10, v6
	s_and_not1_b32 s31, s31, exec_lo
	s_and_not1_b32 s30, s30, exec_lo
	s_delay_alu instid0(VALU_DEP_2) | instskip(NEXT) | instid1(VALU_DEP_1)
	v_cmp_le_i32_e64 s1, s25, v4
	s_and_b32 s1, s1, exec_lo
	s_delay_alu instid0(SALU_CYCLE_1)
	s_or_b32 s31, s31, s1
.LBB3_92:                               ;   in Loop: Header=BB3_93 Depth=2
	s_or_b32 exec_lo, exec_lo, s33
	s_xor_b32 s1, s30, -1
	s_and_b32 s33, exec_lo, s31
	s_delay_alu instid0(SALU_CYCLE_1) | instskip(SKIP_2) | instid1(SALU_CYCLE_1)
	s_or_b32 s28, s33, s28
	s_and_not1_b32 s29, s29, exec_lo
	s_and_b32 s1, s1, exec_lo
	s_or_b32 s29, s29, s1
	s_and_not1_b32 exec_lo, exec_lo, s28
	s_cbranch_execz .LBB3_99
.LBB3_93:                               ;   Parent Loop BB3_71 Depth=1
                                        ; =>  This Loop Header: Depth=2
                                        ;       Child Loop BB3_97 Depth 3
	s_or_b32 s30, s30, exec_lo
	s_or_b32 s31, s31, exec_lo
	s_mov_b32 s33, exec_lo
	v_cmpx_lt_i32_e32 -1, v4
	s_cbranch_execz .LBB3_92
; %bb.94:                               ;   in Loop: Header=BB3_93 Depth=2
	s_and_saveexec_b32 s41, vcc_lo
	s_cbranch_execz .LBB3_91
; %bb.95:                               ;   in Loop: Header=BB3_93 Depth=2
	s_waitcnt lgkmcnt(0)
	v_sub_nc_u32_e32 v7, s9, v4
	v_subrev_nc_u32_e32 v8, s13, v4
	s_mov_b32 s42, 0
	v_mov_b32_e32 v10, v5
	s_delay_alu instid0(VALU_DEP_3) | instskip(NEXT) | instid1(VALU_DEP_3)
	v_mul_lo_u32 v9, v7, v4
	v_lshl_add_u32 v7, v8, 2, s17
	ds_load_b32 v7, v7
	v_lshrrev_b32_e32 v8, 31, v9
	s_delay_alu instid0(VALU_DEP_1) | instskip(NEXT) | instid1(VALU_DEP_1)
	v_add_lshl_u32 v8, v9, v8, 1
	v_dual_mov_b32 v8, v0 :: v_dual_and_b32 v9, -4, v8
	s_delay_alu instid0(VALU_DEP_1)
	v_add_nc_u32_e32 v9, v6, v9
	s_branch .LBB3_97
	.p2align	6
.LBB3_96:                               ;   in Loop: Header=BB3_97 Depth=3
	s_or_b32 exec_lo, exec_lo, s43
	v_add_nc_u32_e32 v10, s34, v10
	v_add_nc_u32_e32 v8, s11, v8
	s_delay_alu instid0(VALU_DEP_2) | instskip(NEXT) | instid1(VALU_DEP_1)
	v_cmp_le_i32_e64 s1, s25, v10
	s_or_b32 s42, s1, s42
	s_delay_alu instid0(SALU_CYCLE_1)
	s_and_not1_b32 exec_lo, exec_lo, s42
	s_cbranch_execz .LBB3_91
.LBB3_97:                               ;   Parent Loop BB3_71 Depth=1
                                        ;     Parent Loop BB3_93 Depth=2
                                        ; =>    This Inner Loop Header: Depth=3
	s_mov_b32 s43, exec_lo
	v_cmpx_ge_i32_e64 v10, v4
	s_cbranch_execz .LBB3_96
; %bb.98:                               ;   in Loop: Header=BB3_97 Depth=3
	v_add_nc_u32_e32 v11, s16, v8
	v_add_nc_u32_e32 v12, v8, v9
	ds_load_b32 v11, v11 offset:4
	ds_load_b32 v13, v12
	s_waitcnt lgkmcnt(0)
	v_fma_f32 v11, -v7, v11, v13
	ds_store_b32 v12, v11
	s_branch .LBB3_96
.LBB3_99:                               ;   in Loop: Header=BB3_71 Depth=1
	s_or_b32 exec_lo, exec_lo, s28
	s_mov_b32 s28, 0
	s_mov_b32 s30, -1
	s_or_not1_b32 s29, s29, exec_lo
.LBB3_100:                              ;   in Loop: Header=BB3_71 Depth=1
	s_or_b32 exec_lo, exec_lo, s27
	s_mov_b32 s1, s15
	s_and_saveexec_b32 s16, s29
	s_cbranch_execz .LBB3_102
; %bb.101:                              ;   in Loop: Header=BB3_71 Depth=1
	s_or_b32 s1, s15, exec_lo
	s_waitcnt lgkmcnt(0)
	s_barrier
	buffer_gl0_inv
                                        ; implicit-def: $sgpr30
                                        ; implicit-def: $sgpr28
.LBB3_102:                              ;   in Loop: Header=BB3_71 Depth=1
	s_or_b32 exec_lo, exec_lo, s16
	s_delay_alu instid0(SALU_CYCLE_1)
	s_and_not1_b32 s16, s20, exec_lo
	s_and_b32 s17, s30, exec_lo
	s_and_not1_b32 s18, s18, exec_lo
	s_and_b32 s27, s28, exec_lo
	s_or_b32 s20, s16, s17
	s_and_not1_b32 s16, s19, exec_lo
	s_and_not1_b32 s15, s15, exec_lo
	s_and_b32 s1, s1, exec_lo
	s_or_b32 s18, s18, s27
	s_or_b32 s19, s16, s27
	;; [unrolled: 1-line block ×3, first 2 shown]
.LBB3_103:                              ;   in Loop: Header=BB3_71 Depth=1
	s_or_b32 exec_lo, exec_lo, s26
	s_mov_b32 s1, -1
	s_and_saveexec_b32 s16, s15
	s_cbranch_execz .LBB3_70
.LBB3_104:                              ;   in Loop: Header=BB3_71 Depth=1
	s_add_i32 s13, s13, 1
	s_delay_alu instid0(SALU_CYCLE_1)
	s_cmp_eq_u32 s13, s25
	s_cselect_b32 s1, -1, 0
	s_xor_b32 s14, s14, -1
	s_and_not1_b32 s20, s20, exec_lo
	s_or_b32 s1, s14, s1
	s_and_not1_b32 s18, s18, exec_lo
	s_and_not1_b32 s19, s19, exec_lo
	s_or_not1_b32 s1, s1, exec_lo
	s_branch .LBB3_70
.LBB3_105:
	s_or_b32 exec_lo, exec_lo, s4
	s_mov_b32 s1, 0
	s_mov_b32 s26, -1
	s_mov_b32 s28, 0
	s_mov_b32 s27, 0
	s_and_saveexec_b32 s0, s12
	s_cbranch_execz .LBB3_109
; %bb.106:
	s_mov_b32 s3, -1
	s_mov_b32 s2, 0
	s_and_saveexec_b32 s4, s7
	s_delay_alu instid0(SALU_CYCLE_1)
	s_xor_b32 s4, exec_lo, s4
; %bb.107:
	s_mov_b32 s2, exec_lo
	s_xor_b32 s3, exec_lo, -1
	s_and_b32 s1, s6, exec_lo
; %bb.108:
	s_or_b32 exec_lo, exec_lo, s4
	s_delay_alu instid0(SALU_CYCLE_1)
	s_xor_b32 s26, exec_lo, -1
	s_and_b32 s27, s3, exec_lo
	s_and_b32 s28, s2, exec_lo
	;; [unrolled: 1-line block ×3, first 2 shown]
.LBB3_109:
	s_or_b32 exec_lo, exec_lo, s0
	s_mov_b32 s41, s35
	s_and_saveexec_b32 s29, s1
	s_cbranch_execnz .LBB3_111
	s_branch .LBB3_118
.LBB3_110:
	s_mov_b32 s1, -1
	s_mov_b32 s28, 0
	s_mov_b32 s27, 0
	;; [unrolled: 1-line block ×4, first 2 shown]
	s_and_saveexec_b32 s29, s1
	s_cbranch_execz .LBB3_118
.LBB3_111:
	s_mov_b32 s0, -1
	s_mov_b32 s41, 0
	s_and_b32 vcc_lo, exec_lo, s40
	s_mov_b32 s1, 0
	s_mov_b32 s42, s35
	s_waitcnt lgkmcnt(0)
	s_waitcnt_vscnt null, 0x0
	s_barrier
	buffer_gl0_inv
	s_cbranch_vccnz .LBB3_126
; %bb.112:
	s_and_b32 vcc_lo, exec_lo, s0
	s_mov_b32 s40, 0
	s_cbranch_vccnz .LBB3_153
.LBB3_113:
	s_and_saveexec_b32 s0, s1
	s_cbranch_execnz .LBB3_170
.LBB3_114:
	s_or_b32 exec_lo, exec_lo, s0
	s_and_saveexec_b32 s0, s41
	s_delay_alu instid0(SALU_CYCLE_1)
	s_xor_b32 s21, exec_lo, s0
	s_cbranch_execnz .LBB3_171
.LBB3_115:
	s_or_b32 exec_lo, exec_lo, s21
	s_and_saveexec_b32 s0, s40
	s_delay_alu instid0(SALU_CYCLE_1)
	s_xor_b32 s21, exec_lo, s0
	s_cbranch_execz .LBB3_117
.LBB3_116:
	s_add_u32 s8, s22, 48
	s_addc_u32 s9, s23, 0
	s_getpc_b64 s[0:1]
	s_add_u32 s0, s0, .str.7@rel32@lo+4
	s_addc_u32 s1, s1, .str.7@rel32@hi+12
	s_getpc_b64 s[2:3]
	s_add_u32 s2, s2, __PRETTY_FUNCTION__._ZN9rocsolver6v33100L9idx_lowerIiEET_S2_S2_S2_@rel32@lo+4
	s_addc_u32 s3, s3, __PRETTY_FUNCTION__._ZN9rocsolver6v33100L9idx_lowerIiEET_S2_S2_S2_@rel32@hi+12
	v_dual_mov_b32 v0, s0 :: v_dual_mov_b32 v1, s1
	v_dual_mov_b32 v2, 0x50 :: v_dual_mov_b32 v3, s2
	v_mov_b32_e32 v4, s3
	s_getpc_b64 s[4:5]
	s_add_u32 s4, s4, __assert_fail@rel32@lo+4
	s_addc_u32 s5, s5, __assert_fail@rel32@hi+12
	s_delay_alu instid0(SALU_CYCLE_1)
	s_swappc_b64 s[30:31], s[4:5]
	s_or_b32 s42, s42, exec_lo
.LBB3_117:
	s_or_b32 exec_lo, exec_lo, s21
	s_delay_alu instid0(SALU_CYCLE_1)
	s_and_not1_b32 s0, s35, exec_lo
	s_and_b32 s1, s42, exec_lo
	s_and_not1_b32 s28, s28, exec_lo
	s_or_b32 s41, s0, s1
.LBB3_118:
	s_or_b32 exec_lo, exec_lo, s29
	s_and_saveexec_b32 s0, s28
	s_delay_alu instid0(SALU_CYCLE_1)
	s_xor_b32 s21, exec_lo, s0
	s_cbranch_execnz .LBB3_124
; %bb.119:
	s_or_b32 exec_lo, exec_lo, s21
	s_and_saveexec_b32 s0, s27
	s_delay_alu instid0(SALU_CYCLE_1)
	s_xor_b32 s21, exec_lo, s0
	s_cbranch_execnz .LBB3_125
.LBB3_120:
	s_or_b32 exec_lo, exec_lo, s21
	s_and_saveexec_b32 s0, s26
	s_delay_alu instid0(SALU_CYCLE_1)
	s_xor_b32 s21, exec_lo, s0
	s_cbranch_execz .LBB3_122
.LBB3_121:
	s_add_u32 s8, s22, 48
	s_addc_u32 s9, s23, 0
	s_getpc_b64 s[0:1]
	s_add_u32 s0, s0, .str.6@rel32@lo+4
	s_addc_u32 s1, s1, .str.6@rel32@hi+12
	s_getpc_b64 s[2:3]
	s_add_u32 s2, s2, __PRETTY_FUNCTION__._ZN9rocsolver6v33100L9idx_lowerIiEET_S2_S2_S2_@rel32@lo+4
	s_addc_u32 s3, s3, __PRETTY_FUNCTION__._ZN9rocsolver6v33100L9idx_lowerIiEET_S2_S2_S2_@rel32@hi+12
	v_dual_mov_b32 v0, s0 :: v_dual_mov_b32 v1, s1
	v_dual_mov_b32 v2, 0x4f :: v_dual_mov_b32 v3, s2
	v_mov_b32_e32 v4, s3
	s_getpc_b64 s[4:5]
	s_add_u32 s4, s4, __assert_fail@rel32@lo+4
	s_addc_u32 s5, s5, __assert_fail@rel32@hi+12
	s_delay_alu instid0(SALU_CYCLE_1)
	s_swappc_b64 s[30:31], s[4:5]
	s_or_b32 s41, s41, exec_lo
.LBB3_122:
	s_or_b32 exec_lo, exec_lo, s21
	s_delay_alu instid0(SALU_CYCLE_1)
	s_and_not1_b32 s0, s35, exec_lo
	s_and_b32 s1, s41, exec_lo
	s_and_not1_b32 s38, s38, exec_lo
	s_or_b32 s35, s0, s1
	s_or_b32 exec_lo, exec_lo, s39
	s_and_saveexec_b32 s0, s38
	s_delay_alu instid0(SALU_CYCLE_1)
	s_xor_b32 s21, exec_lo, s0
	s_cbranch_execz .LBB3_57
.LBB3_123:
	s_add_u32 s8, s22, 48
	s_addc_u32 s9, s23, 0
	s_getpc_b64 s[0:1]
	s_add_u32 s0, s0, .str.8@rel32@lo+4
	s_addc_u32 s1, s1, .str.8@rel32@hi+12
	s_getpc_b64 s[2:3]
	s_add_u32 s2, s2, __PRETTY_FUNCTION__._ZN9rocsolver6v33100L9idx_lowerIiEET_S2_S2_S2_@rel32@lo+4
	s_addc_u32 s3, s3, __PRETTY_FUNCTION__._ZN9rocsolver6v33100L9idx_lowerIiEET_S2_S2_S2_@rel32@hi+12
	v_dual_mov_b32 v0, s0 :: v_dual_mov_b32 v1, s1
	v_dual_mov_b32 v2, 0x51 :: v_dual_mov_b32 v3, s2
	v_mov_b32_e32 v4, s3
	s_getpc_b64 s[4:5]
	s_add_u32 s4, s4, __assert_fail@rel32@lo+4
	s_addc_u32 s5, s5, __assert_fail@rel32@hi+12
	s_delay_alu instid0(SALU_CYCLE_1) | instskip(SKIP_3) | instid1(SALU_CYCLE_1)
	s_swappc_b64 s[30:31], s[4:5]
	s_or_b32 s35, s35, exec_lo
	s_or_b32 exec_lo, exec_lo, s21
	s_and_saveexec_b32 s0, s37
	s_xor_b32 s21, exec_lo, s0
	s_cbranch_execnz .LBB3_58
	s_branch .LBB3_59
.LBB3_124:
	s_add_u32 s8, s22, 48
	s_addc_u32 s9, s23, 0
	s_getpc_b64 s[0:1]
	s_add_u32 s0, s0, .str.6@rel32@lo+4
	s_addc_u32 s1, s1, .str.6@rel32@hi+12
	s_getpc_b64 s[2:3]
	s_add_u32 s2, s2, __PRETTY_FUNCTION__._ZN9rocsolver6v33100L9idx_lowerIiEET_S2_S2_S2_@rel32@lo+4
	s_addc_u32 s3, s3, __PRETTY_FUNCTION__._ZN9rocsolver6v33100L9idx_lowerIiEET_S2_S2_S2_@rel32@hi+12
	v_dual_mov_b32 v0, s0 :: v_dual_mov_b32 v1, s1
	v_dual_mov_b32 v2, 0x4f :: v_dual_mov_b32 v3, s2
	v_mov_b32_e32 v4, s3
	s_getpc_b64 s[4:5]
	s_add_u32 s4, s4, __assert_fail@rel32@lo+4
	s_addc_u32 s5, s5, __assert_fail@rel32@hi+12
	s_delay_alu instid0(SALU_CYCLE_1) | instskip(SKIP_3) | instid1(SALU_CYCLE_1)
	s_swappc_b64 s[30:31], s[4:5]
	s_or_b32 s41, s41, exec_lo
	s_or_b32 exec_lo, exec_lo, s21
	s_and_saveexec_b32 s0, s27
	s_xor_b32 s21, exec_lo, s0
	s_cbranch_execz .LBB3_120
.LBB3_125:
	s_add_u32 s8, s22, 48
	s_addc_u32 s9, s23, 0
	s_getpc_b64 s[0:1]
	s_add_u32 s0, s0, .str.8@rel32@lo+4
	s_addc_u32 s1, s1, .str.8@rel32@hi+12
	s_getpc_b64 s[2:3]
	s_add_u32 s2, s2, __PRETTY_FUNCTION__._ZN9rocsolver6v33100L9idx_lowerIiEET_S2_S2_S2_@rel32@lo+4
	s_addc_u32 s3, s3, __PRETTY_FUNCTION__._ZN9rocsolver6v33100L9idx_lowerIiEET_S2_S2_S2_@rel32@hi+12
	v_dual_mov_b32 v0, s0 :: v_dual_mov_b32 v1, s1
	v_dual_mov_b32 v2, 0x51 :: v_dual_mov_b32 v3, s2
	v_mov_b32_e32 v4, s3
	s_getpc_b64 s[4:5]
	s_add_u32 s4, s4, __assert_fail@rel32@lo+4
	s_addc_u32 s5, s5, __assert_fail@rel32@hi+12
	s_delay_alu instid0(SALU_CYCLE_1) | instskip(SKIP_3) | instid1(SALU_CYCLE_1)
	s_swappc_b64 s[30:31], s[4:5]
	s_or_b32 s41, s41, exec_lo
	s_or_b32 exec_lo, exec_lo, s21
	s_and_saveexec_b32 s0, s26
	s_xor_b32 s21, exec_lo, s0
	s_cbranch_execnz .LBB3_121
	s_branch .LBB3_122
.LBB3_126:
	s_mov_b32 s1, -1
	s_mov_b32 s42, s35
	s_and_saveexec_b32 s40, s21
	s_cbranch_execz .LBB3_152
; %bb.127:
	v_lshl_add_u32 v2, v42, 2, 0
	v_mov_b32_e32 v3, v43
	s_lshl_b32 s0, s25, 1
	s_mov_b32 s4, 0
	s_or_b32 s6, s0, 1
	s_lshl_b32 s7, s34, 2
                                        ; implicit-def: $sgpr5
                                        ; implicit-def: $sgpr3
                                        ; implicit-def: $sgpr2
                                        ; implicit-def: $sgpr8
	s_branch .LBB3_129
.LBB3_128:                              ;   in Loop: Header=BB3_129 Depth=1
	s_or_b32 exec_lo, exec_lo, s11
	s_xor_b32 s1, s1, -1
	s_xor_b32 s0, s0, -1
	s_and_b32 s9, exec_lo, s9
	s_delay_alu instid0(SALU_CYCLE_1)
	s_or_b32 s4, s9, s4
	s_and_not1_b32 s2, s2, exec_lo
	s_and_b32 s9, s8, exec_lo
	s_and_not1_b32 s3, s3, exec_lo
	s_and_b32 s1, s1, exec_lo
	;; [unrolled: 2-line block ×3, first 2 shown]
	s_or_b32 s2, s2, s9
	s_or_b32 s3, s3, s1
	;; [unrolled: 1-line block ×3, first 2 shown]
	s_and_not1_b32 exec_lo, exec_lo, s4
	s_cbranch_execz .LBB3_141
.LBB3_129:                              ; =>This Loop Header: Depth=1
                                        ;     Child Loop BB3_134 Depth 2
	v_add_nc_u32_e32 v0, v3, v42
	s_mov_b32 s10, -1
	s_mov_b32 s9, exec_lo
                                        ; implicit-def: $sgpr0
                                        ; implicit-def: $sgpr1
                                        ; implicit-def: $sgpr11
	s_delay_alu instid0(VALU_DEP_1)
	v_cmpx_gt_i32_e64 s25, v0
	s_cbranch_execz .LBB3_139
; %bb.130:                              ;   in Loop: Header=BB3_129 Depth=1
	v_sub_nc_u32_e32 v1, s6, v3
	v_mad_i64_i32 v[4:5], null, v3, s36, 0
	v_cmp_lt_i32_e32 vcc_lo, -1, v3
	s_mov_b32 s11, 0
	s_delay_alu instid0(VALU_DEP_3) | instskip(NEXT) | instid1(VALU_DEP_3)
	v_mul_lo_u32 v1, v1, v3
                                        ; implicit-def: $sgpr10
                                        ; implicit-def: $sgpr14
                                        ; implicit-def: $sgpr12
                                        ; implicit-def: $sgpr13
                                        ; implicit-def: $sgpr15
                                        ; implicit-def: $sgpr18
                                        ; implicit-def: $sgpr16
                                        ; implicit-def: $sgpr19
                                        ; implicit-def: $sgpr17
	v_lshlrev_b64 v[4:5], 2, v[4:5]
	s_delay_alu instid0(VALU_DEP_2) | instskip(NEXT) | instid1(VALU_DEP_2)
	v_lshrrev_b32_e32 v6, 31, v1
	v_add_co_u32 v4, s0, v44, v4
	s_delay_alu instid0(VALU_DEP_1) | instskip(NEXT) | instid1(VALU_DEP_3)
	v_add_co_ci_u32_e64 v5, s0, v45, v5, s0
	v_add_lshl_u32 v1, v1, v6, 1
	s_delay_alu instid0(VALU_DEP_1) | instskip(NEXT) | instid1(VALU_DEP_1)
	v_and_b32_e32 v1, -4, v1
	v_add_nc_u32_e32 v6, v2, v1
	s_branch .LBB3_134
.LBB3_131:                              ;   in Loop: Header=BB3_134 Depth=2
	s_or_b32 exec_lo, exec_lo, s33
	s_delay_alu instid0(SALU_CYCLE_1)
	s_mov_b32 s0, exec_lo
	s_or_not1_b32 s42, s42, exec_lo
	s_xor_b32 s33, exec_lo, -1
	s_or_not1_b32 s1, s1, exec_lo
.LBB3_132:                              ;   in Loop: Header=BB3_134 Depth=2
	s_or_b32 exec_lo, exec_lo, s31
	s_delay_alu instid0(SALU_CYCLE_1)
	s_and_not1_b32 s17, s17, exec_lo
	s_and_b32 s31, s42, exec_lo
	s_and_not1_b32 s19, s19, exec_lo
	s_or_b32 s17, s17, s31
	s_and_b32 s30, s30, exec_lo
	s_and_not1_b32 s16, s16, exec_lo
	s_and_b32 s31, s33, exec_lo
	s_and_not1_b32 s18, s18, exec_lo
	;; [unrolled: 2-line block ×3, first 2 shown]
	s_and_b32 s1, s1, exec_lo
	s_or_b32 s19, s19, s30
	s_or_b32 s16, s16, s31
	;; [unrolled: 1-line block ×4, first 2 shown]
.LBB3_133:                              ;   in Loop: Header=BB3_134 Depth=2
	s_or_b32 exec_lo, exec_lo, s20
	s_xor_b32 s0, s17, -1
	s_and_b32 s1, exec_lo, s15
	s_delay_alu instid0(SALU_CYCLE_1)
	s_or_b32 s11, s1, s11
	s_and_not1_b32 s1, s13, exec_lo
	s_and_b32 s13, s19, exec_lo
	s_and_not1_b32 s12, s12, exec_lo
	s_and_b32 s20, s16, exec_lo
	s_or_b32 s13, s1, s13
	s_and_not1_b32 s1, s14, exec_lo
	s_and_b32 s14, s18, exec_lo
	s_and_not1_b32 s10, s10, exec_lo
	s_and_b32 s0, s0, exec_lo
	s_or_b32 s12, s12, s20
	s_or_b32 s14, s1, s14
	s_or_b32 s10, s10, s0
	s_and_not1_b32 exec_lo, exec_lo, s11
	s_cbranch_execz .LBB3_138
.LBB3_134:                              ;   Parent Loop BB3_129 Depth=1
                                        ; =>  This Inner Loop Header: Depth=2
	s_or_b32 s17, s17, exec_lo
	s_or_b32 s19, s19, exec_lo
	s_and_not1_b32 s16, s16, exec_lo
	s_and_not1_b32 s18, s18, exec_lo
	s_or_b32 s15, s15, exec_lo
	s_mov_b32 s20, exec_lo
	v_cmpx_lt_i32_e32 -1, v0
	s_cbranch_execz .LBB3_133
; %bb.135:                              ;   in Loop: Header=BB3_134 Depth=2
	s_mov_b32 s30, 0
	s_mov_b32 s1, -1
	s_mov_b32 s0, 0
	s_mov_b32 s33, -1
	s_mov_b32 s42, -1
	s_and_saveexec_b32 s31, vcc_lo
	s_cbranch_execz .LBB3_132
; %bb.136:                              ;   in Loop: Header=BB3_134 Depth=2
	s_mov_b32 s33, exec_lo
	v_cmpx_ge_u32_e64 v0, v3
	s_cbranch_execz .LBB3_131
; %bb.137:                              ;   in Loop: Header=BB3_134 Depth=2
	ds_load_b32 v9, v6
	v_ashrrev_i32_e32 v1, 31, v0
	v_add_nc_u32_e32 v6, s7, v6
	s_xor_b32 s42, exec_lo, -1
	s_delay_alu instid0(VALU_DEP_2) | instskip(SKIP_1) | instid1(VALU_DEP_1)
	v_lshlrev_b64 v[7:8], 2, v[0:1]
	v_add_nc_u32_e32 v0, s34, v0
	v_cmp_le_i32_e64 s0, s25, v0
	s_delay_alu instid0(VALU_DEP_3) | instskip(NEXT) | instid1(VALU_DEP_1)
	v_add_co_u32 v7, s1, v4, v7
	v_add_co_ci_u32_e64 v8, s1, v5, v8, s1
	s_delay_alu instid0(VALU_DEP_3)
	s_or_not1_b32 s1, s0, exec_lo
	s_waitcnt lgkmcnt(0)
	flat_store_b32 v[7:8], v9
	s_branch .LBB3_131
.LBB3_138:                              ;   in Loop: Header=BB3_129 Depth=1
	s_or_b32 exec_lo, exec_lo, s11
	s_delay_alu instid0(SALU_CYCLE_1)
	s_and_b32 s11, s14, exec_lo
	s_and_b32 s1, s12, exec_lo
	;; [unrolled: 1-line block ×3, first 2 shown]
	s_or_not1_b32 s10, s10, exec_lo
.LBB3_139:                              ;   in Loop: Header=BB3_129 Depth=1
	s_or_b32 exec_lo, exec_lo, s9
	s_delay_alu instid0(SALU_CYCLE_1)
	s_and_not1_b32 s8, s8, exec_lo
	s_and_b32 s11, s11, exec_lo
	s_mov_b32 s9, -1
	s_or_b32 s8, s8, s11
	s_and_saveexec_b32 s11, s10
	s_cbranch_execz .LBB3_128
; %bb.140:                              ;   in Loop: Header=BB3_129 Depth=1
	v_add_nc_u32_e32 v3, s24, v3
	s_and_not1_b32 s8, s8, exec_lo
	s_and_not1_b32 s1, s1, exec_lo
	;; [unrolled: 1-line block ×3, first 2 shown]
	s_delay_alu instid0(VALU_DEP_1)
	v_cmp_le_i32_e32 vcc_lo, s25, v3
	s_or_not1_b32 s9, vcc_lo, exec_lo
	s_branch .LBB3_128
.LBB3_141:
	s_or_b32 exec_lo, exec_lo, s4
	s_mov_b32 s43, 0
	s_mov_b32 s45, s35
	s_and_saveexec_b32 s0, s5
	s_delay_alu instid0(SALU_CYCLE_1)
	s_xor_b32 s42, exec_lo, s0
	s_cbranch_execz .LBB3_149
; %bb.142:
	s_mov_b32 s44, 0
	s_mov_b32 s45, s35
	s_and_saveexec_b32 s0, s3
	s_delay_alu instid0(SALU_CYCLE_1)
	s_xor_b32 s43, exec_lo, s0
	s_cbranch_execz .LBB3_146
; %bb.143:
	s_mov_b32 s0, -1
	s_mov_b32 s1, s35
	s_and_saveexec_b32 s3, s2
	s_delay_alu instid0(SALU_CYCLE_1)
	s_xor_b32 s44, exec_lo, s3
	s_cbranch_execz .LBB3_145
; %bb.144:
	s_add_u32 s8, s22, 48
	s_addc_u32 s9, s23, 0
	s_getpc_b64 s[0:1]
	s_add_u32 s0, s0, .str.8@rel32@lo+4
	s_addc_u32 s1, s1, .str.8@rel32@hi+12
	s_getpc_b64 s[2:3]
	s_add_u32 s2, s2, __PRETTY_FUNCTION__._ZN9rocsolver6v33100L9idx_lowerIiEET_S2_S2_S2_@rel32@lo+4
	s_addc_u32 s3, s3, __PRETTY_FUNCTION__._ZN9rocsolver6v33100L9idx_lowerIiEET_S2_S2_S2_@rel32@hi+12
	v_dual_mov_b32 v0, s0 :: v_dual_mov_b32 v1, s1
	v_dual_mov_b32 v2, 0x51 :: v_dual_mov_b32 v3, s2
	v_mov_b32_e32 v4, s3
	s_getpc_b64 s[4:5]
	s_add_u32 s4, s4, __assert_fail@rel32@lo+4
	s_addc_u32 s5, s5, __assert_fail@rel32@hi+12
	s_delay_alu instid0(SALU_CYCLE_1)
	s_swappc_b64 s[30:31], s[4:5]
	s_or_b32 s1, s35, exec_lo
	s_xor_b32 s0, exec_lo, -1
.LBB3_145:
	s_or_b32 exec_lo, exec_lo, s44
	s_delay_alu instid0(SALU_CYCLE_1)
	s_and_not1_b32 s2, s35, exec_lo
	s_and_b32 s1, s1, exec_lo
	s_and_b32 s44, s0, exec_lo
	s_or_b32 s45, s2, s1
.LBB3_146:
	s_and_not1_saveexec_b32 s43, s43
	s_cbranch_execz .LBB3_148
; %bb.147:
	s_add_u32 s8, s22, 48
	s_addc_u32 s9, s23, 0
	s_getpc_b64 s[0:1]
	s_add_u32 s0, s0, .str.7@rel32@lo+4
	s_addc_u32 s1, s1, .str.7@rel32@hi+12
	s_getpc_b64 s[2:3]
	s_add_u32 s2, s2, __PRETTY_FUNCTION__._ZN9rocsolver6v33100L9idx_lowerIiEET_S2_S2_S2_@rel32@lo+4
	s_addc_u32 s3, s3, __PRETTY_FUNCTION__._ZN9rocsolver6v33100L9idx_lowerIiEET_S2_S2_S2_@rel32@hi+12
	v_dual_mov_b32 v0, s0 :: v_dual_mov_b32 v1, s1
	v_dual_mov_b32 v2, 0x50 :: v_dual_mov_b32 v3, s2
	v_mov_b32_e32 v4, s3
	s_getpc_b64 s[4:5]
	s_add_u32 s4, s4, __assert_fail@rel32@lo+4
	s_addc_u32 s5, s5, __assert_fail@rel32@hi+12
	s_delay_alu instid0(SALU_CYCLE_1)
	s_swappc_b64 s[30:31], s[4:5]
	s_or_b32 s45, s45, exec_lo
.LBB3_148:
	s_or_b32 exec_lo, exec_lo, s43
	s_delay_alu instid0(SALU_CYCLE_1)
	s_and_not1_b32 s0, s35, exec_lo
	s_and_b32 s1, s45, exec_lo
	s_and_b32 s43, s44, exec_lo
	s_or_b32 s45, s0, s1
.LBB3_149:
	s_and_not1_saveexec_b32 s42, s42
	s_cbranch_execz .LBB3_151
; %bb.150:
	s_add_u32 s8, s22, 48
	s_addc_u32 s9, s23, 0
	s_getpc_b64 s[0:1]
	s_add_u32 s0, s0, .str.6@rel32@lo+4
	s_addc_u32 s1, s1, .str.6@rel32@hi+12
	s_getpc_b64 s[2:3]
	s_add_u32 s2, s2, __PRETTY_FUNCTION__._ZN9rocsolver6v33100L9idx_lowerIiEET_S2_S2_S2_@rel32@lo+4
	s_addc_u32 s3, s3, __PRETTY_FUNCTION__._ZN9rocsolver6v33100L9idx_lowerIiEET_S2_S2_S2_@rel32@hi+12
	v_dual_mov_b32 v0, s0 :: v_dual_mov_b32 v1, s1
	v_dual_mov_b32 v2, 0x4f :: v_dual_mov_b32 v3, s2
	v_mov_b32_e32 v4, s3
	s_getpc_b64 s[4:5]
	s_add_u32 s4, s4, __assert_fail@rel32@lo+4
	s_addc_u32 s5, s5, __assert_fail@rel32@hi+12
	s_delay_alu instid0(SALU_CYCLE_1)
	s_swappc_b64 s[30:31], s[4:5]
	s_or_b32 s45, s45, exec_lo
.LBB3_151:
	s_or_b32 exec_lo, exec_lo, s42
	s_delay_alu instid0(SALU_CYCLE_1) | instskip(SKIP_1) | instid1(SALU_CYCLE_1)
	s_and_not1_b32 s0, s35, exec_lo
	s_and_b32 s1, s45, exec_lo
	s_or_b32 s42, s0, s1
	s_or_not1_b32 s1, s43, exec_lo
.LBB3_152:
	s_or_b32 exec_lo, exec_lo, s40
	s_mov_b32 s40, 0
	s_branch .LBB3_113
.LBB3_153:
	s_mov_b32 s1, -1
	s_mov_b32 s41, 0
	s_and_saveexec_b32 s0, s21
	s_cbranch_execz .LBB3_169
; %bb.154:
	v_lshlrev_b32_e32 v0, 2, v43
	v_lshlrev_b32_e32 v1, 2, v42
	s_lshl_b32 s1, s25, 1
	s_mov_b32 s2, 0
	v_sub_nc_u32_e32 v2, s1, v42
	s_lshl_b32 s1, s34, 2
	v_sub_nc_u32_e32 v0, v0, v1
	s_lshl_b32 s4, s24, 2
	s_sub_i32 s5, 0, s1
	v_add_nc_u32_e32 v2, 1, v2
                                        ; implicit-def: $sgpr3
                                        ; implicit-def: $sgpr1
	s_delay_alu instid0(VALU_DEP_2)
	v_add_nc_u32_e32 v3, 0, v0
	s_branch .LBB3_156
.LBB3_155:                              ;   in Loop: Header=BB3_156 Depth=1
	s_or_b32 exec_lo, exec_lo, s9
	s_xor_b32 s7, s10, -1
	s_xor_b32 s8, s8, -1
	s_and_b32 s6, exec_lo, s6
	s_delay_alu instid0(SALU_CYCLE_1)
	s_or_b32 s2, s6, s2
	s_and_not1_b32 s1, s1, exec_lo
	s_and_b32 s6, s7, exec_lo
	s_and_not1_b32 s3, s3, exec_lo
	s_and_b32 s7, s8, exec_lo
	s_or_b32 s1, s1, s6
	s_or_b32 s3, s3, s7
	s_and_not1_b32 exec_lo, exec_lo, s2
	s_cbranch_execz .LBB3_166
.LBB3_156:                              ; =>This Loop Header: Depth=1
                                        ;     Child Loop BB3_160 Depth 2
	s_mov_b32 s7, -1
	s_mov_b32 s6, exec_lo
                                        ; implicit-def: $sgpr8
                                        ; implicit-def: $sgpr10
	v_cmpx_le_i32_e64 v42, v43
	s_cbranch_execz .LBB3_164
; %bb.157:                              ;   in Loop: Header=BB3_156 Depth=1
	v_mad_i64_i32 v[0:1], null, v43, s36, 0
	v_dual_mov_b32 v4, v3 :: v_dual_mov_b32 v5, v2
	s_mov_b32 s8, 0
                                        ; implicit-def: $sgpr7
                                        ; implicit-def: $sgpr11
                                        ; implicit-def: $sgpr9
                                        ; implicit-def: $sgpr13
                                        ; implicit-def: $sgpr10
                                        ; implicit-def: $sgpr12
                                        ; implicit-def: $sgpr14
	s_delay_alu instid0(VALU_DEP_2) | instskip(NEXT) | instid1(VALU_DEP_1)
	v_lshlrev_b64 v[0:1], 2, v[0:1]
	v_add_co_u32 v6, vcc_lo, v44, v0
	s_delay_alu instid0(VALU_DEP_2)
	v_add_co_ci_u32_e32 v7, vcc_lo, v45, v1, vcc_lo
	v_mov_b32_e32 v0, v42
	s_branch .LBB3_160
.LBB3_158:                              ;   in Loop: Header=BB3_160 Depth=2
	s_or_b32 exec_lo, exec_lo, s16
	s_delay_alu instid0(SALU_CYCLE_1)
	s_and_not1_b32 s14, s14, exec_lo
	s_and_b32 s16, s18, exec_lo
	s_and_not1_b32 s13, s13, exec_lo
	s_or_b32 s14, s14, s16
	s_and_b32 s16, s17, exec_lo
	s_and_not1_b32 s12, s12, exec_lo
	s_or_b32 s10, s10, exec_lo
	s_or_b32 s13, s13, s16
.LBB3_159:                              ;   in Loop: Header=BB3_160 Depth=2
	s_or_b32 exec_lo, exec_lo, s15
	s_xor_b32 s15, s14, -1
	s_and_b32 s16, exec_lo, s13
	s_delay_alu instid0(SALU_CYCLE_1)
	s_or_b32 s8, s16, s8
	s_and_not1_b32 s9, s9, exec_lo
	s_and_b32 s16, s12, exec_lo
	s_and_not1_b32 s11, s11, exec_lo
	s_or_b32 s9, s9, s16
	s_and_b32 s16, s10, exec_lo
	s_and_not1_b32 s7, s7, exec_lo
	s_and_b32 s15, s15, exec_lo
	s_or_b32 s11, s11, s16
	s_or_b32 s7, s7, s15
	s_and_not1_b32 exec_lo, exec_lo, s8
	s_cbranch_execz .LBB3_163
.LBB3_160:                              ;   Parent Loop BB3_156 Depth=1
                                        ; =>  This Inner Loop Header: Depth=2
	s_or_b32 s14, s14, exec_lo
	s_or_b32 s12, s12, exec_lo
	s_and_not1_b32 s10, s10, exec_lo
	s_or_b32 s13, s13, exec_lo
	s_mov_b32 s15, exec_lo
	v_cmpx_lt_i32_e32 -1, v0
	s_cbranch_execz .LBB3_159
; %bb.161:                              ;   in Loop: Header=BB3_160 Depth=2
	s_mov_b32 s17, -1
	s_mov_b32 s18, -1
	s_mov_b32 s16, exec_lo
	v_cmpx_ge_u32_e64 v43, v0
	s_cbranch_execz .LBB3_158
; %bb.162:                              ;   in Loop: Header=BB3_160 Depth=2
	v_mul_lo_u32 v1, v5, v0
	v_subrev_nc_u32_e32 v5, s34, v5
	s_xor_b32 s18, exec_lo, -1
	s_delay_alu instid0(VALU_DEP_2) | instskip(NEXT) | instid1(VALU_DEP_1)
	v_lshrrev_b32_e32 v8, 31, v1
	v_add_lshl_u32 v1, v1, v8, 1
	s_delay_alu instid0(VALU_DEP_1) | instskip(NEXT) | instid1(VALU_DEP_1)
	v_and_b32_e32 v1, -4, v1
	v_add_nc_u32_e32 v8, v4, v1
	v_ashrrev_i32_e32 v1, 31, v0
	v_add_nc_u32_e32 v4, s5, v4
	ds_load_b32 v10, v8
	v_lshlrev_b64 v[8:9], 2, v[0:1]
	v_add_nc_u32_e32 v0, s34, v0
	s_delay_alu instid0(VALU_DEP_2) | instskip(NEXT) | instid1(VALU_DEP_3)
	v_add_co_u32 v8, vcc_lo, v6, v8
	v_add_co_ci_u32_e32 v9, vcc_lo, v7, v9, vcc_lo
	s_delay_alu instid0(VALU_DEP_3)
	v_cmp_gt_i32_e32 vcc_lo, v0, v43
	s_or_not1_b32 s17, vcc_lo, exec_lo
	s_waitcnt lgkmcnt(0)
	flat_store_b32 v[8:9], v10
	s_branch .LBB3_158
.LBB3_163:                              ;   in Loop: Header=BB3_156 Depth=1
	s_or_b32 exec_lo, exec_lo, s8
	s_delay_alu instid0(SALU_CYCLE_1)
	s_and_b32 s10, s11, exec_lo
	s_and_b32 s8, s9, exec_lo
	s_or_not1_b32 s7, s7, exec_lo
.LBB3_164:                              ;   in Loop: Header=BB3_156 Depth=1
	s_or_b32 exec_lo, exec_lo, s6
	s_mov_b32 s6, -1
	s_and_saveexec_b32 s9, s7
	s_cbranch_execz .LBB3_155
; %bb.165:                              ;   in Loop: Header=BB3_156 Depth=1
	v_add_nc_u32_e32 v43, s24, v43
	v_add_nc_u32_e32 v3, s4, v3
	s_and_not1_b32 s10, s10, exec_lo
	s_and_not1_b32 s8, s8, exec_lo
	s_delay_alu instid0(VALU_DEP_2)
	v_cmp_le_i32_e32 vcc_lo, s25, v43
	s_or_not1_b32 s6, vcc_lo, exec_lo
	s_branch .LBB3_155
.LBB3_166:
	s_or_b32 exec_lo, exec_lo, s2
	s_mov_b32 s2, 0
	s_mov_b32 s5, -1
	s_mov_b32 s4, 0
	s_and_saveexec_b32 s6, s3
	s_delay_alu instid0(SALU_CYCLE_1)
	s_xor_b32 s3, exec_lo, s6
; %bb.167:
	s_mov_b32 s4, exec_lo
	s_xor_b32 s5, exec_lo, -1
	s_and_b32 s2, s1, exec_lo
; %bb.168:
	s_or_b32 exec_lo, exec_lo, s3
	s_delay_alu instid0(SALU_CYCLE_1)
	s_and_b32 s40, s5, exec_lo
	s_and_b32 s41, s4, exec_lo
	s_or_not1_b32 s1, s2, exec_lo
.LBB3_169:
	s_or_b32 exec_lo, exec_lo, s0
	s_and_saveexec_b32 s0, s1
	s_cbranch_execz .LBB3_114
.LBB3_170:
	s_waitcnt lgkmcnt(0)
	s_waitcnt_vscnt null, 0x0
	s_barrier
	s_and_not1_b32 s41, s41, exec_lo
	buffer_gl0_inv
	s_or_b32 exec_lo, exec_lo, s0
	s_and_saveexec_b32 s0, s41
	s_delay_alu instid0(SALU_CYCLE_1)
	s_xor_b32 s21, exec_lo, s0
	s_cbranch_execz .LBB3_115
.LBB3_171:
	s_add_u32 s8, s22, 48
	s_addc_u32 s9, s23, 0
	s_getpc_b64 s[0:1]
	s_add_u32 s0, s0, .str.8@rel32@lo+4
	s_addc_u32 s1, s1, .str.8@rel32@hi+12
	s_getpc_b64 s[2:3]
	s_add_u32 s2, s2, __PRETTY_FUNCTION__._ZN9rocsolver6v33100L9idx_lowerIiEET_S2_S2_S2_@rel32@lo+4
	s_addc_u32 s3, s3, __PRETTY_FUNCTION__._ZN9rocsolver6v33100L9idx_lowerIiEET_S2_S2_S2_@rel32@hi+12
	v_dual_mov_b32 v0, s0 :: v_dual_mov_b32 v1, s1
	v_dual_mov_b32 v2, 0x51 :: v_dual_mov_b32 v3, s2
	v_mov_b32_e32 v4, s3
	s_getpc_b64 s[4:5]
	s_add_u32 s4, s4, __assert_fail@rel32@lo+4
	s_addc_u32 s5, s5, __assert_fail@rel32@hi+12
	s_delay_alu instid0(SALU_CYCLE_1) | instskip(SKIP_3) | instid1(SALU_CYCLE_1)
	s_swappc_b64 s[30:31], s[4:5]
	s_or_b32 s42, s42, exec_lo
	s_or_b32 exec_lo, exec_lo, s21
	s_and_saveexec_b32 s0, s40
	s_xor_b32 s21, exec_lo, s0
	s_cbranch_execnz .LBB3_116
	s_branch .LBB3_117
	.section	.rodata,"a",@progbits
	.p2align	6, 0x0
	.amdhsa_kernel _ZN9rocsolver6v33100L18potf2_kernel_smallIfiiPKPfEEvbT0_T2_lS5_lPT1_
		.amdhsa_group_segment_fixed_size 0
		.amdhsa_private_segment_fixed_size 64
		.amdhsa_kernarg_size 304
		.amdhsa_user_sgpr_count 14
		.amdhsa_user_sgpr_dispatch_ptr 0
		.amdhsa_user_sgpr_queue_ptr 0
		.amdhsa_user_sgpr_kernarg_segment_ptr 1
		.amdhsa_user_sgpr_dispatch_id 0
		.amdhsa_user_sgpr_private_segment_size 0
		.amdhsa_wavefront_size32 1
		.amdhsa_uses_dynamic_stack 0
		.amdhsa_enable_private_segment 1
		.amdhsa_system_sgpr_workgroup_id_x 1
		.amdhsa_system_sgpr_workgroup_id_y 0
		.amdhsa_system_sgpr_workgroup_id_z 1
		.amdhsa_system_sgpr_workgroup_info 0
		.amdhsa_system_vgpr_workitem_id 2
		.amdhsa_next_free_vgpr 51
		.amdhsa_next_free_sgpr 46
		.amdhsa_reserve_vcc 1
		.amdhsa_float_round_mode_32 0
		.amdhsa_float_round_mode_16_64 0
		.amdhsa_float_denorm_mode_32 3
		.amdhsa_float_denorm_mode_16_64 3
		.amdhsa_dx10_clamp 1
		.amdhsa_ieee_mode 1
		.amdhsa_fp16_overflow 0
		.amdhsa_workgroup_processor_mode 1
		.amdhsa_memory_ordered 1
		.amdhsa_forward_progress 0
		.amdhsa_shared_vgpr_count 0
		.amdhsa_exception_fp_ieee_invalid_op 0
		.amdhsa_exception_fp_denorm_src 0
		.amdhsa_exception_fp_ieee_div_zero 0
		.amdhsa_exception_fp_ieee_overflow 0
		.amdhsa_exception_fp_ieee_underflow 0
		.amdhsa_exception_fp_ieee_inexact 0
		.amdhsa_exception_int_div_zero 0
	.end_amdhsa_kernel
	.section	.text._ZN9rocsolver6v33100L18potf2_kernel_smallIfiiPKPfEEvbT0_T2_lS5_lPT1_,"axG",@progbits,_ZN9rocsolver6v33100L18potf2_kernel_smallIfiiPKPfEEvbT0_T2_lS5_lPT1_,comdat
.Lfunc_end3:
	.size	_ZN9rocsolver6v33100L18potf2_kernel_smallIfiiPKPfEEvbT0_T2_lS5_lPT1_, .Lfunc_end3-_ZN9rocsolver6v33100L18potf2_kernel_smallIfiiPKPfEEvbT0_T2_lS5_lPT1_
                                        ; -- End function
	.section	.AMDGPU.csdata,"",@progbits
; Kernel info:
; codeLenInByte = 7012
; NumSgprs: 48
; NumVgprs: 51
; ScratchSize: 64
; MemoryBound: 0
; FloatMode: 240
; IeeeMode: 1
; LDSByteSize: 0 bytes/workgroup (compile time only)
; SGPRBlocks: 5
; VGPRBlocks: 6
; NumSGPRsForWavesPerEU: 48
; NumVGPRsForWavesPerEU: 51
; Occupancy: 16
; WaveLimiterHint : 1
; COMPUTE_PGM_RSRC2:SCRATCH_EN: 1
; COMPUTE_PGM_RSRC2:USER_SGPR: 14
; COMPUTE_PGM_RSRC2:TRAP_HANDLER: 0
; COMPUTE_PGM_RSRC2:TGID_X_EN: 1
; COMPUTE_PGM_RSRC2:TGID_Y_EN: 0
; COMPUTE_PGM_RSRC2:TGID_Z_EN: 1
; COMPUTE_PGM_RSRC2:TIDIG_COMP_CNT: 2
	.section	.text._ZN9rocsolver6v33100L18potf2_kernel_smallIfllPfEEvbT0_T2_lS3_lPT1_,"axG",@progbits,_ZN9rocsolver6v33100L18potf2_kernel_smallIfllPfEEvbT0_T2_lS3_lPT1_,comdat
	.globl	_ZN9rocsolver6v33100L18potf2_kernel_smallIfllPfEEvbT0_T2_lS3_lPT1_ ; -- Begin function _ZN9rocsolver6v33100L18potf2_kernel_smallIfllPfEEvbT0_T2_lS3_lPT1_
	.p2align	8
	.type	_ZN9rocsolver6v33100L18potf2_kernel_smallIfllPfEEvbT0_T2_lS3_lPT1_,@function
_ZN9rocsolver6v33100L18potf2_kernel_smallIfllPfEEvbT0_T2_lS3_lPT1_: ; @_ZN9rocsolver6v33100L18potf2_kernel_smallIfllPfEEvbT0_T2_lS3_lPT1_
; %bb.0:
	s_load_b64 s[34:35], s[0:1], 0x44
	s_mov_b64 s[22:23], s[0:1]
	v_mov_b32_e32 v41, v0
	s_mov_b32 s28, s15
	s_mov_b32 s32, 0
	s_waitcnt lgkmcnt(0)
	v_cmp_eq_u16_e64 s0, s35, 1
	s_delay_alu instid0(VALU_DEP_1)
	s_and_b32 vcc_lo, exec_lo, s0
	s_cbranch_vccnz .LBB4_2
; %bb.1:
	s_add_u32 s8, s22, 56
	s_addc_u32 s9, s23, 0
	s_getpc_b64 s[0:1]
	s_add_u32 s0, s0, .str@rel32@lo+4
	s_addc_u32 s1, s1, .str@rel32@hi+12
	s_getpc_b64 s[2:3]
	s_add_u32 s2, s2, __PRETTY_FUNCTION__._ZN9rocsolver6v33100L18potf2_kernel_smallIfllPfEEvbT0_T2_lS3_lPT1_@rel32@lo+4
	s_addc_u32 s3, s3, __PRETTY_FUNCTION__._ZN9rocsolver6v33100L18potf2_kernel_smallIfllPfEEvbT0_T2_lS3_lPT1_@rel32@hi+12
	v_dual_mov_b32 v0, s0 :: v_dual_mov_b32 v1, s1
	v_dual_mov_b32 v2, 0x125 :: v_dual_mov_b32 v3, s2
	v_mov_b32_e32 v4, s3
	s_getpc_b64 s[4:5]
	s_add_u32 s4, s4, __assert_fail@rel32@lo+4
	s_addc_u32 s5, s5, __assert_fail@rel32@hi+12
	s_delay_alu instid0(SALU_CYCLE_1)
	s_swappc_b64 s[30:31], s[4:5]
	s_mov_b32 s35, -1
	s_cbranch_execz .LBB4_3
	s_branch .LBB4_125
.LBB4_2:
	s_mov_b32 s35, 0
.LBB4_3:
	s_load_b256 s[36:43], s[22:23], 0x8
	s_waitcnt lgkmcnt(0)
	s_cmp_lg_u64 s[38:39], 0
	s_cbranch_scc0 .LBB4_17
; %bb.4:
	s_load_b128 s[24:27], s[22:23], 0x28
	s_waitcnt lgkmcnt(0)
	s_cmp_lg_u64 s[26:27], 0
	s_cbranch_scc0 .LBB4_18
; %bb.5:
	s_load_b32 s0, s[22:23], 0x0
	v_dual_mov_b32 v45, 0 :: v_dual_and_b32 v42, 0x3ff, v41
	v_bfe_u32 v44, v41, 10, 10
	s_mov_b32 s45, 0
	s_mov_b32 s1, -1
	s_mov_b32 s29, s45
	s_waitcnt lgkmcnt(0)
	s_waitcnt_vscnt null, 0x0
	v_cmp_gt_i64_e64 s21, s[36:37], v[44:45]
	s_barrier
	buffer_gl0_inv
	s_bitcmp1_b32 s0, 0
	s_cselect_b32 s0, -1, 0
	s_lshr_b32 s44, s34, 16
	s_xor_b32 s47, s0, -1
	s_and_b32 s34, s34, 0xffff
	s_and_b32 vcc_lo, exec_lo, s47
	s_cbranch_vccz .LBB4_19
; %bb.6:
	s_mov_b32 s0, -1
	s_and_saveexec_b32 s46, s21
	s_cbranch_execz .LBB4_23
; %bb.7:
	v_mad_u64_u32 v[0:1], null, s42, v44, 0
	s_mul_i32 s0, s25, s28
	s_mul_hi_u32 s5, s24, s28
	s_mul_i32 s4, s24, s28
	s_add_i32 s5, s5, s0
	s_lshl_b64 s[2:3], s[36:37], 1
	s_lshl_b64 s[6:7], s[40:41], 2
	s_delay_alu instid0(VALU_DEP_1)
	v_mad_u64_u32 v[2:3], null, s43, v44, v[1:2]
	s_lshl_b64 s[4:5], s[4:5], 2
	s_or_b32 s2, s2, 1
	s_add_u32 s0, s6, s4
	s_addc_u32 s6, s7, s5
	s_lshl_b64 s[4:5], s[42:43], 2
	s_mov_b32 s1, 0
	s_delay_alu instid0(VALU_DEP_1)
	v_mov_b32_e32 v1, v2
	v_add_lshl_u32 v2, v44, v42, 2
	s_add_u32 s4, s4, 4
	s_addc_u32 s5, s5, 0
	s_lshl_b32 s7, s34, 2
	v_lshlrev_b64 v[0:1], 2, v[0:1]
	s_mul_i32 s5, s5, s44
                                        ; implicit-def: $sgpr8
	s_delay_alu instid0(VALU_DEP_1) | instskip(NEXT) | instid1(VALU_DEP_2)
	v_add_co_u32 v0, vcc_lo, s0, v0
	v_add_co_ci_u32_e32 v1, vcc_lo, s6, v1, vcc_lo
	s_mul_hi_u32 s0, s4, s44
	s_delay_alu instid0(VALU_DEP_2) | instskip(SKIP_1) | instid1(VALU_DEP_3)
	v_add_co_u32 v0, vcc_lo, v0, v2
	v_mov_b32_e32 v2, v44
	v_add_co_ci_u32_e32 v1, vcc_lo, 0, v1, vcc_lo
	s_delay_alu instid0(VALU_DEP_3) | instskip(SKIP_1) | instid1(VALU_DEP_3)
	v_add_co_u32 v0, vcc_lo, s38, v0
	v_mov_b32_e32 v3, v45
	v_add_co_ci_u32_e32 v1, vcc_lo, s39, v1, vcc_lo
	s_add_i32 s5, s0, s5
	s_mul_i32 s6, s4, s44
                                        ; implicit-def: $sgpr4
	s_branch .LBB4_9
.LBB4_8:                                ;   in Loop: Header=BB4_9 Depth=1
	s_or_b32 exec_lo, exec_lo, s9
	s_delay_alu instid0(SALU_CYCLE_1) | instskip(NEXT) | instid1(SALU_CYCLE_1)
	s_and_b32 s0, exec_lo, s10
	s_or_b32 s1, s0, s1
	s_and_not1_b32 s0, s4, exec_lo
	s_and_b32 s4, s8, exec_lo
	s_delay_alu instid0(SALU_CYCLE_1)
	s_or_b32 s4, s0, s4
	s_and_not1_b32 exec_lo, exec_lo, s1
	s_cbranch_execz .LBB4_20
.LBB4_9:                                ; =>This Loop Header: Depth=1
                                        ;     Child Loop BB4_12 Depth 2
	v_add_co_u32 v4, vcc_lo, v2, v42
	v_add_co_ci_u32_e32 v5, vcc_lo, 0, v3, vcc_lo
	s_mov_b32 s0, -1
	s_mov_b32 s9, exec_lo
                                        ; implicit-def: $sgpr10
	s_delay_alu instid0(VALU_DEP_1)
	v_cmpx_gt_i64_e64 s[36:37], v[4:5]
	s_cbranch_execz .LBB4_15
; %bb.10:                               ;   in Loop: Header=BB4_9 Depth=1
	v_sub_co_u32 v8, vcc_lo, s2, v2
	v_sub_co_ci_u32_e32 v6, vcc_lo, s3, v3, vcc_lo
	s_mov_b32 s10, 0
	s_delay_alu instid0(VALU_DEP_2) | instskip(NEXT) | instid1(VALU_DEP_2)
	v_mul_lo_u32 v10, v8, v3
                                        ; implicit-def: $sgpr11
                                        ; implicit-def: $sgpr13
                                        ; implicit-def: $sgpr12
	v_mul_lo_u32 v9, v6, v2
	v_mad_u64_u32 v[6:7], null, v8, v2, 0
	s_delay_alu instid0(VALU_DEP_1) | instskip(NEXT) | instid1(VALU_DEP_1)
	v_add3_u32 v7, v7, v10, v9
	v_lshrrev_b32_e32 v7, 31, v7
	s_delay_alu instid0(VALU_DEP_1) | instskip(NEXT) | instid1(VALU_DEP_1)
	v_add_nc_u32_e32 v6, v6, v7
	v_lshrrev_b32_e32 v6, 1, v6
	s_delay_alu instid0(VALU_DEP_1) | instskip(NEXT) | instid1(VALU_DEP_1)
	v_add_nc_u32_e32 v6, v42, v6
	v_lshl_add_u32 v8, v6, 2, 0
	v_dual_mov_b32 v7, v1 :: v_dual_mov_b32 v6, v0
	s_set_inst_prefetch_distance 0x1
	s_branch .LBB4_12
	.p2align	6
.LBB4_11:                               ;   in Loop: Header=BB4_12 Depth=2
	s_or_b32 exec_lo, exec_lo, s14
	s_xor_b32 s0, s12, -1
	s_and_b32 s14, exec_lo, s13
	s_delay_alu instid0(SALU_CYCLE_1) | instskip(SKIP_2) | instid1(SALU_CYCLE_1)
	s_or_b32 s10, s14, s10
	s_and_not1_b32 s11, s11, exec_lo
	s_and_b32 s0, s0, exec_lo
	s_or_b32 s11, s11, s0
	s_and_not1_b32 exec_lo, exec_lo, s10
	s_cbranch_execz .LBB4_14
.LBB4_12:                               ;   Parent Loop BB4_9 Depth=1
                                        ; =>  This Inner Loop Header: Depth=2
	s_or_b32 s12, s12, exec_lo
	s_or_b32 s13, s13, exec_lo
	s_mov_b32 s14, exec_lo
	v_cmpx_ge_u64_e64 v[4:5], v[2:3]
	s_cbranch_execz .LBB4_11
; %bb.13:                               ;   in Loop: Header=BB4_12 Depth=2
	global_load_b32 v9, v[6:7], off
	v_add_co_u32 v4, vcc_lo, v4, s34
	v_add_co_ci_u32_e32 v5, vcc_lo, 0, v5, vcc_lo
	v_add_co_u32 v6, s0, v6, s7
	s_delay_alu instid0(VALU_DEP_1) | instskip(NEXT) | instid1(VALU_DEP_3)
	v_add_co_ci_u32_e64 v7, s0, 0, v7, s0
	v_cmp_le_i64_e32 vcc_lo, s[36:37], v[4:5]
	s_and_not1_b32 s0, s13, exec_lo
	s_and_not1_b32 s12, s12, exec_lo
	s_and_b32 s13, vcc_lo, exec_lo
	s_delay_alu instid0(SALU_CYCLE_1)
	s_or_b32 s13, s0, s13
	s_waitcnt vmcnt(0)
	ds_store_b32 v8, v9
	v_add_nc_u32_e32 v8, s7, v8
	s_branch .LBB4_11
.LBB4_14:                               ;   in Loop: Header=BB4_9 Depth=1
	s_set_inst_prefetch_distance 0x2
	s_or_b32 exec_lo, exec_lo, s10
	s_mov_b32 s10, -1
	s_or_not1_b32 s0, s11, exec_lo
.LBB4_15:                               ;   in Loop: Header=BB4_9 Depth=1
	s_or_b32 exec_lo, exec_lo, s9
	s_delay_alu instid0(SALU_CYCLE_1)
	s_and_not1_b32 s8, s8, exec_lo
	s_and_b32 s9, s10, exec_lo
	s_mov_b32 s10, -1
	s_or_b32 s8, s8, s9
	s_and_saveexec_b32 s9, s0
	s_cbranch_execz .LBB4_8
; %bb.16:                               ;   in Loop: Header=BB4_9 Depth=1
	v_add_co_u32 v2, vcc_lo, v2, s44
	v_add_co_ci_u32_e32 v3, vcc_lo, 0, v3, vcc_lo
	v_add_co_u32 v0, s0, v0, s6
	s_delay_alu instid0(VALU_DEP_1) | instskip(NEXT) | instid1(VALU_DEP_3)
	v_add_co_ci_u32_e64 v1, s0, s5, v1, s0
	v_cmp_le_i64_e32 vcc_lo, s[36:37], v[2:3]
	s_and_not1_b32 s8, s8, exec_lo
	s_or_not1_b32 s10, vcc_lo, exec_lo
	s_branch .LBB4_8
.LBB4_17:
	s_cbranch_execnz .LBB4_124
	s_branch .LBB4_125
.LBB4_18:
	s_cbranch_execnz .LBB4_122
	s_branch .LBB4_123
.LBB4_19:
	s_mov_b32 s0, 0
	s_and_b32 vcc_lo, exec_lo, s1
	s_cbranch_vccnz .LBB4_24
	s_branch .LBB4_37
.LBB4_20:
	s_or_b32 exec_lo, exec_lo, s1
	s_mov_b32 s0, -1
	s_mov_b32 s1, s35
	s_and_saveexec_b32 s2, s4
	s_delay_alu instid0(SALU_CYCLE_1)
	s_xor_b32 s48, exec_lo, s2
	s_cbranch_execz .LBB4_22
; %bb.21:
	s_add_u32 s8, s22, 56
	s_addc_u32 s9, s23, 0
	s_getpc_b64 s[0:1]
	s_add_u32 s0, s0, .str.8@rel32@lo+4
	s_addc_u32 s1, s1, .str.8@rel32@hi+12
	s_getpc_b64 s[2:3]
	s_add_u32 s2, s2, __PRETTY_FUNCTION__._ZN9rocsolver6v33100L9idx_lowerIlEET_S2_S2_S2_@rel32@lo+4
	s_addc_u32 s3, s3, __PRETTY_FUNCTION__._ZN9rocsolver6v33100L9idx_lowerIlEET_S2_S2_S2_@rel32@hi+12
	v_dual_mov_b32 v0, s0 :: v_dual_mov_b32 v1, s1
	v_dual_mov_b32 v2, 0x51 :: v_dual_mov_b32 v3, s2
	v_mov_b32_e32 v4, s3
	s_getpc_b64 s[4:5]
	s_add_u32 s4, s4, __assert_fail@rel32@lo+4
	s_addc_u32 s5, s5, __assert_fail@rel32@hi+12
	s_delay_alu instid0(SALU_CYCLE_1)
	s_swappc_b64 s[30:31], s[4:5]
	s_or_b32 s1, s35, exec_lo
	s_xor_b32 s0, exec_lo, -1
.LBB4_22:
	s_or_b32 exec_lo, exec_lo, s48
	s_delay_alu instid0(SALU_CYCLE_1)
	s_and_not1_b32 s2, s35, exec_lo
	s_and_b32 s1, s1, exec_lo
	s_or_not1_b32 s0, s0, exec_lo
	s_or_b32 s35, s2, s1
.LBB4_23:
	s_or_b32 exec_lo, exec_lo, s46
	s_branch .LBB4_37
.LBB4_24:
	s_mov_b32 s0, -1
	s_mov_b32 s45, 0
	s_and_saveexec_b32 s1, s21
	s_cbranch_execz .LBB4_36
; %bb.25:
	v_mad_u64_u32 v[0:1], null, s42, v44, 0
	s_mul_i32 s0, s25, s28
	s_mul_hi_u32 s5, s24, s28
	s_lshl_b64 s[2:3], s[36:37], 1
	s_mul_i32 s4, s24, s28
	s_add_i32 s5, s5, s0
	s_lshl_b64 s[6:7], s[40:41], 2
	s_delay_alu instid0(VALU_DEP_1)
	v_mad_u64_u32 v[2:3], null, s43, v44, v[1:2]
	s_lshl_b64 s[4:5], s[4:5], 2
	v_lshlrev_b32_e32 v3, 2, v42
	v_mov_b32_e32 v43, 0
	s_mul_i32 s9, s43, s44
	s_mul_hi_u32 s10, s42, s44
	v_sub_nc_u32_e32 v12, v44, v42
	s_delay_alu instid0(VALU_DEP_4) | instskip(SKIP_1) | instid1(VALU_DEP_1)
	v_mov_b32_e32 v1, v2
	v_sub_co_u32 v2, s0, s2, v42
	v_sub_co_ci_u32_e64 v4, null, s3, 0, s0
	s_delay_alu instid0(VALU_DEP_3)
	v_lshlrev_b64 v[0:1], 2, v[0:1]
	s_add_u32 s0, s6, s4
	s_addc_u32 s2, s7, s5
	s_mul_i32 s8, s42, s44
	s_add_i32 s9, s10, s9
	s_mov_b32 s4, 0
	v_add_co_u32 v5, vcc_lo, s0, v0
	v_add_co_ci_u32_e32 v6, vcc_lo, s2, v1, vcc_lo
	v_add_co_u32 v0, vcc_lo, v2, 1
	v_add_co_ci_u32_e32 v1, vcc_lo, 0, v4, vcc_lo
	s_delay_alu instid0(VALU_DEP_4) | instskip(SKIP_2) | instid1(VALU_DEP_3)
	v_add_co_u32 v2, vcc_lo, v5, v3
	v_mov_b32_e32 v4, v44
	v_add_co_ci_u32_e32 v3, vcc_lo, 0, v6, vcc_lo
	v_add_co_u32 v2, vcc_lo, s38, v2
	v_mov_b32_e32 v5, v45
	s_delay_alu instid0(VALU_DEP_3)
	v_add_co_ci_u32_e32 v3, vcc_lo, s39, v3, vcc_lo
	s_lshl_b64 s[2:3], s[8:9], 2
	s_lshl_b32 s6, s34, 2
                                        ; implicit-def: $sgpr5
	s_branch .LBB4_27
.LBB4_26:                               ;   in Loop: Header=BB4_27 Depth=1
	s_or_b32 exec_lo, exec_lo, s7
	s_xor_b32 s7, s8, -1
	s_and_b32 s0, exec_lo, s0
	s_delay_alu instid0(SALU_CYCLE_1) | instskip(SKIP_2) | instid1(SALU_CYCLE_1)
	s_or_b32 s4, s0, s4
	s_and_not1_b32 s0, s5, exec_lo
	s_and_b32 s5, s7, exec_lo
	s_or_b32 s5, s0, s5
	s_and_not1_b32 exec_lo, exec_lo, s4
	s_cbranch_execz .LBB4_35
.LBB4_27:                               ; =>This Loop Header: Depth=1
                                        ;     Child Loop BB4_30 Depth 2
	s_mov_b32 s9, -1
	s_mov_b32 s7, exec_lo
                                        ; implicit-def: $sgpr8
	v_cmpx_ge_u64_e64 v[4:5], v[42:43]
	s_cbranch_execz .LBB4_33
; %bb.28:                               ;   in Loop: Header=BB4_27 Depth=1
	v_dual_mov_b32 v13, v12 :: v_dual_mov_b32 v10, v42
	v_dual_mov_b32 v7, v3 :: v_dual_mov_b32 v6, v2
	;; [unrolled: 1-line block ×3, first 2 shown]
	v_mov_b32_e32 v11, v43
	s_mov_b32 s8, 0
                                        ; implicit-def: $sgpr9
                                        ; implicit-def: $sgpr11
                                        ; implicit-def: $sgpr10
	s_branch .LBB4_30
.LBB4_29:                               ;   in Loop: Header=BB4_30 Depth=2
	s_or_b32 exec_lo, exec_lo, s12
	s_xor_b32 s0, s10, -1
	s_and_b32 s12, exec_lo, s11
	s_delay_alu instid0(SALU_CYCLE_1) | instskip(SKIP_2) | instid1(SALU_CYCLE_1)
	s_or_b32 s8, s12, s8
	s_and_not1_b32 s9, s9, exec_lo
	s_and_b32 s0, s0, exec_lo
	s_or_b32 s9, s9, s0
	s_and_not1_b32 exec_lo, exec_lo, s8
	s_cbranch_execz .LBB4_32
.LBB4_30:                               ;   Parent Loop BB4_27 Depth=1
                                        ; =>  This Inner Loop Header: Depth=2
	s_or_b32 s10, s10, exec_lo
	s_or_b32 s11, s11, exec_lo
	s_mov_b32 s12, exec_lo
	v_cmpx_gt_i64_e64 s[36:37], v[10:11]
	s_cbranch_execz .LBB4_29
; %bb.31:                               ;   in Loop: Header=BB4_30 Depth=2
	global_load_b32 v16, v[6:7], off
	v_mul_lo_u32 v17, v9, v10
	v_mul_lo_u32 v18, v8, v11
	v_mad_u64_u32 v[14:15], null, v8, v10, 0
	v_add_co_u32 v10, vcc_lo, v10, s34
	v_add_co_ci_u32_e32 v11, vcc_lo, 0, v11, vcc_lo
	v_sub_co_u32 v8, vcc_lo, v8, s34
	s_delay_alu instid0(VALU_DEP_4) | instskip(SKIP_1) | instid1(VALU_DEP_4)
	v_add3_u32 v15, v15, v18, v17
	v_subrev_co_ci_u32_e32 v9, vcc_lo, 0, v9, vcc_lo
	v_cmp_gt_u64_e32 vcc_lo, v[10:11], v[4:5]
	v_add_co_u32 v6, s0, v6, s6
	s_delay_alu instid0(VALU_DEP_4) | instskip(SKIP_3) | instid1(VALU_DEP_2)
	v_lshrrev_b32_e32 v15, 31, v15
	v_add_co_ci_u32_e64 v7, s0, 0, v7, s0
	s_and_not1_b32 s0, s11, exec_lo
	s_and_b32 s11, vcc_lo, exec_lo
	v_add_nc_u32_e32 v14, v14, v15
	s_and_not1_b32 s10, s10, exec_lo
	s_or_b32 s11, s0, s11
	s_delay_alu instid0(VALU_DEP_1) | instskip(NEXT) | instid1(VALU_DEP_1)
	v_lshrrev_b32_e32 v14, 1, v14
	v_add_nc_u32_e32 v14, v13, v14
	v_subrev_nc_u32_e32 v13, s34, v13
	s_delay_alu instid0(VALU_DEP_2)
	v_lshl_add_u32 v14, v14, 2, 0
	s_waitcnt vmcnt(0)
	ds_store_b32 v14, v16
	s_branch .LBB4_29
.LBB4_32:                               ;   in Loop: Header=BB4_27 Depth=1
	s_or_b32 exec_lo, exec_lo, s8
	s_mov_b32 s8, -1
	s_or_not1_b32 s9, s9, exec_lo
.LBB4_33:                               ;   in Loop: Header=BB4_27 Depth=1
	s_or_b32 exec_lo, exec_lo, s7
	s_mov_b32 s0, -1
	s_and_saveexec_b32 s7, s9
	s_cbranch_execz .LBB4_26
; %bb.34:                               ;   in Loop: Header=BB4_27 Depth=1
	v_add_co_u32 v4, vcc_lo, v4, s44
	v_add_co_ci_u32_e32 v5, vcc_lo, 0, v5, vcc_lo
	v_add_co_u32 v2, s0, v2, s2
	v_add_nc_u32_e32 v12, s44, v12
	s_delay_alu instid0(VALU_DEP_3)
	v_cmp_le_i64_e32 vcc_lo, s[36:37], v[4:5]
	v_add_co_ci_u32_e64 v3, s0, s3, v3, s0
	s_and_not1_b32 s8, s8, exec_lo
	s_or_not1_b32 s0, vcc_lo, exec_lo
	s_branch .LBB4_26
.LBB4_35:
	s_or_b32 exec_lo, exec_lo, s4
	s_delay_alu instid0(SALU_CYCLE_1)
	s_mov_b32 s45, exec_lo
	s_or_not1_b32 s0, s5, exec_lo
.LBB4_36:
	s_or_b32 exec_lo, exec_lo, s1
.LBB4_37:
	s_and_saveexec_b32 s46, s0
	s_cbranch_execz .LBB4_119
; %bb.38:
	v_cmp_gt_i64_e64 s0, s[36:37], 0
	s_mov_b64 s[8:9], 0
	s_waitcnt lgkmcnt(0)
	s_waitcnt_vscnt null, 0x0
	s_barrier
	buffer_gl0_inv
	s_and_b32 vcc_lo, exec_lo, s0
	s_cbranch_vccz .LBB4_80
; %bb.39:
	v_bfe_u32 v0, v41, 20, 10
	s_mul_i32 s12, s44, s34
	v_mul_u32_u24_e32 v1, s34, v44
	s_lshl_b64 s[0:1], s[28:29], 3
	v_mov_b32_e32 v7, 0
	v_mul_lo_u32 v0, s12, v0
	s_add_u32 s2, s26, s0
	v_sub_nc_u32_e32 v8, v42, v44
	s_addc_u32 s3, s27, s1
	s_lshl_b64 s[4:5], s[36:37], 1
	s_mov_b32 s13, 0
	s_or_b32 s4, s4, 1
	s_lshl_b32 s15, s12, 2
	v_add3_u32 v6, v1, v42, v0
	s_lshl_b32 s16, s34, 2
	s_mov_b64 s[6:7], 0
                                        ; implicit-def: $sgpr17
                                        ; implicit-def: $sgpr14
	s_delay_alu instid0(VALU_DEP_1)
	v_cmp_eq_u32_e64 s0, 0, v6
	s_branch .LBB4_42
.LBB4_40:                               ;   in Loop: Header=BB4_42 Depth=1
	s_and_not1_b32 s19, s19, exec_lo
	s_and_not1_b32 s20, s20, exec_lo
	s_or_not1_b32 s10, s10, exec_lo
.LBB4_41:                               ;   in Loop: Header=BB4_42 Depth=1
	s_or_b32 exec_lo, exec_lo, s1
	s_xor_b32 s1, s19, -1
	s_xor_b32 s11, s20, -1
	s_and_b32 s10, exec_lo, s10
	s_delay_alu instid0(SALU_CYCLE_1)
	s_or_b32 s13, s10, s13
	s_and_not1_b32 s10, s14, exec_lo
	s_and_b32 s1, s1, exec_lo
	s_and_not1_b32 s17, s17, exec_lo
	s_and_b32 s11, s11, exec_lo
	s_or_b32 s14, s10, s1
	s_or_b32 s17, s17, s11
	s_and_not1_b32 exec_lo, exec_lo, s13
	s_cbranch_execz .LBB4_75
.LBB4_42:                               ; =>This Loop Header: Depth=1
                                        ;     Child Loop BB4_53 Depth 2
                                        ;     Child Loop BB4_62 Depth 2
                                        ;       Child Loop BB4_66 Depth 3
	s_add_u32 s1, s8, s4
	s_addc_u32 s9, s9, s5
	s_mul_i32 s10, s1, s7
	s_mul_hi_u32 s11, s1, s6
	s_mul_i32 s9, s9, s6
	s_add_i32 s10, s11, s10
	s_mul_i32 s1, s1, s6
	s_add_i32 s9, s10, s9
	s_mov_b32 s18, 0
	s_lshr_b32 s10, s9, 31
	s_delay_alu instid0(SALU_CYCLE_1) | instskip(SKIP_1) | instid1(SALU_CYCLE_1)
	s_add_u32 s10, s1, s10
	s_addc_u32 s11, s9, 0
	s_ashr_i64 s[10:11], s[10:11], 1
	s_delay_alu instid0(SALU_CYCLE_1) | instskip(NEXT) | instid1(SALU_CYCLE_1)
	s_lshl_b32 s1, s10, 2
	s_add_i32 s9, s1, 0
	s_mov_b32 s1, -1
	v_mov_b32_e32 v0, s9
	ds_load_b32 v0, v0
	s_waitcnt lgkmcnt(0)
	v_cmp_class_f32_e64 s11, v0, 0x180
	s_delay_alu instid0(VALU_DEP_1)
	s_and_b32 vcc_lo, exec_lo, s11
	s_cbranch_vccnz .LBB4_47
; %bb.43:                               ;   in Loop: Header=BB4_42 Depth=1
	s_and_saveexec_b32 s1, s0
	s_cbranch_execz .LBB4_46
; %bb.44:                               ;   in Loop: Header=BB4_42 Depth=1
	global_load_b64 v[1:2], v7, s[2:3]
	s_waitcnt vmcnt(0)
	v_cmp_ne_u64_e32 vcc_lo, 0, v[1:2]
	s_cbranch_vccnz .LBB4_46
; %bb.45:                               ;   in Loop: Header=BB4_42 Depth=1
	s_add_u32 s18, s6, 1
	s_addc_u32 s19, s7, 0
	s_delay_alu instid0(SALU_CYCLE_1)
	v_dual_mov_b32 v1, s18 :: v_dual_mov_b32 v2, s19
	global_store_b64 v7, v[1:2], s[2:3]
.LBB4_46:                               ;   in Loop: Header=BB4_42 Depth=1
	s_or_b32 exec_lo, exec_lo, s1
	s_mov_b32 s1, 0
	s_mov_b32 s18, -1
.LBB4_47:                               ;   in Loop: Header=BB4_42 Depth=1
	s_and_not1_b32 vcc_lo, exec_lo, s1
	s_cbranch_vccnz .LBB4_55
; %bb.48:                               ;   in Loop: Header=BB4_42 Depth=1
	v_mul_f32_e32 v1, 0x4f800000, v0
	v_cmp_gt_f32_e32 vcc_lo, 0xf800000, v0
	s_delay_alu instid0(VALU_DEP_2) | instskip(NEXT) | instid1(VALU_DEP_1)
	v_cndmask_b32_e32 v0, v0, v1, vcc_lo
	v_sqrt_f32_e32 v1, v0
	s_waitcnt_depctr 0xfff
	v_add_nc_u32_e32 v2, -1, v1
	v_add_nc_u32_e32 v3, 1, v1
	s_delay_alu instid0(VALU_DEP_2) | instskip(NEXT) | instid1(VALU_DEP_2)
	v_fma_f32 v4, -v2, v1, v0
	v_fma_f32 v5, -v3, v1, v0
	s_delay_alu instid0(VALU_DEP_2) | instskip(NEXT) | instid1(VALU_DEP_1)
	v_cmp_ge_f32_e64 s1, 0, v4
	v_cndmask_b32_e64 v1, v1, v2, s1
	s_delay_alu instid0(VALU_DEP_3) | instskip(NEXT) | instid1(VALU_DEP_1)
	v_cmp_lt_f32_e64 s1, 0, v5
	v_cndmask_b32_e64 v1, v1, v3, s1
	s_delay_alu instid0(VALU_DEP_1) | instskip(NEXT) | instid1(VALU_DEP_1)
	v_mul_f32_e32 v2, 0x37800000, v1
	v_cndmask_b32_e32 v1, v1, v2, vcc_lo
	v_cmp_class_f32_e64 vcc_lo, v0, 0x260
	s_delay_alu instid0(VALU_DEP_2)
	v_cndmask_b32_e32 v2, v1, v0, vcc_lo
	s_and_saveexec_b32 s1, s0
	s_cbranch_execz .LBB4_50
; %bb.49:                               ;   in Loop: Header=BB4_42 Depth=1
	v_mov_b32_e32 v0, s9
	ds_store_b32 v0, v2
.LBB4_50:                               ;   in Loop: Header=BB4_42 Depth=1
	s_or_b32 exec_lo, exec_lo, s1
	s_add_u32 s1, s6, 1
	s_addc_u32 s27, s7, 0
	v_add_co_u32 v0, s9, s1, v6
	s_delay_alu instid0(VALU_DEP_1)
	v_add_co_ci_u32_e64 v1, null, s27, 0, s9
	s_mov_b32 s26, -1
	s_mov_b32 s9, exec_lo
	s_waitcnt lgkmcnt(0)
	s_waitcnt_vscnt null, 0x0
	s_barrier
	buffer_gl0_inv
                                        ; implicit-def: $sgpr19
                                        ; implicit-def: $sgpr20
	v_cmpx_gt_i64_e64 s[36:37], v[0:1]
	s_cbranch_execz .LBB4_57
; %bb.51:                               ;   in Loop: Header=BB4_42 Depth=1
	v_add_lshl_u32 v3, v6, s10, 2
	s_mov_b32 s19, 0
                                        ; implicit-def: $sgpr26
                                        ; implicit-def: $sgpr29
                                        ; implicit-def: $sgpr20
	s_delay_alu instid0(VALU_DEP_1)
	v_add3_u32 v3, 0, 4, v3
	s_set_inst_prefetch_distance 0x1
	s_branch .LBB4_53
	.p2align	6
.LBB4_52:                               ;   in Loop: Header=BB4_53 Depth=2
	s_or_b32 exec_lo, exec_lo, s30
	s_xor_b32 s30, s20, -1
	s_and_b32 s31, exec_lo, s29
	s_delay_alu instid0(SALU_CYCLE_1) | instskip(SKIP_2) | instid1(SALU_CYCLE_1)
	s_or_b32 s19, s31, s19
	s_and_not1_b32 s26, s26, exec_lo
	s_and_b32 s30, s30, exec_lo
	s_or_b32 s26, s26, s30
	s_and_not1_b32 exec_lo, exec_lo, s19
	s_cbranch_execz .LBB4_56
.LBB4_53:                               ;   Parent Loop BB4_42 Depth=1
                                        ; =>  This Inner Loop Header: Depth=2
	s_or_b32 s20, s20, exec_lo
	s_or_b32 s29, s29, exec_lo
	s_mov_b32 s30, exec_lo
	v_cmpx_le_u64_e64 s[6:7], v[0:1]
	s_cbranch_execz .LBB4_52
; %bb.54:                               ;   in Loop: Header=BB4_53 Depth=2
	ds_load_b32 v4, v3
	s_and_not1_b32 s29, s29, exec_lo
	s_and_not1_b32 s20, s20, exec_lo
	s_waitcnt lgkmcnt(0)
	v_div_scale_f32 v5, null, v2, v2, v4
	v_div_scale_f32 v11, vcc_lo, v4, v2, v4
	s_delay_alu instid0(VALU_DEP_2) | instskip(SKIP_2) | instid1(VALU_DEP_1)
	v_rcp_f32_e32 v9, v5
	s_waitcnt_depctr 0xfff
	v_fma_f32 v10, -v5, v9, 1.0
	v_fmac_f32_e32 v9, v10, v9
	s_delay_alu instid0(VALU_DEP_1) | instskip(NEXT) | instid1(VALU_DEP_1)
	v_mul_f32_e32 v10, v11, v9
	v_fma_f32 v12, -v5, v10, v11
	s_delay_alu instid0(VALU_DEP_1) | instskip(NEXT) | instid1(VALU_DEP_1)
	v_fmac_f32_e32 v10, v12, v9
	v_fma_f32 v5, -v5, v10, v11
	s_delay_alu instid0(VALU_DEP_1) | instskip(SKIP_2) | instid1(VALU_DEP_3)
	v_div_fmas_f32 v5, v5, v9, v10
	v_add_co_u32 v0, vcc_lo, v0, s12
	v_add_co_ci_u32_e32 v1, vcc_lo, 0, v1, vcc_lo
	v_div_fixup_f32 v4, v5, v2, v4
	s_delay_alu instid0(VALU_DEP_2) | instskip(SKIP_3) | instid1(SALU_CYCLE_1)
	v_cmp_le_i64_e32 vcc_lo, s[36:37], v[0:1]
	ds_store_b32 v3, v4
	v_add_nc_u32_e32 v3, s15, v3
	s_and_b32 s31, vcc_lo, exec_lo
	s_or_b32 s29, s29, s31
	s_branch .LBB4_52
.LBB4_55:                               ;   in Loop: Header=BB4_42 Depth=1
                                        ; implicit-def: $sgpr20
                                        ; implicit-def: $sgpr19
	s_mov_b32 s10, -1
                                        ; implicit-def: $sgpr8_sgpr9
	s_and_saveexec_b32 s1, s18
	s_delay_alu instid0(SALU_CYCLE_1)
	s_xor_b32 s1, exec_lo, s1
	s_cbranch_execz .LBB4_41
	s_branch .LBB4_73
.LBB4_56:                               ;   in Loop: Header=BB4_42 Depth=1
	s_set_inst_prefetch_distance 0x2
	s_or_b32 exec_lo, exec_lo, s19
	s_mov_b32 s20, -1
	s_mov_b32 s19, 0
	s_or_not1_b32 s26, s26, exec_lo
.LBB4_57:                               ;   in Loop: Header=BB4_42 Depth=1
	s_or_b32 exec_lo, exec_lo, s9
	s_and_saveexec_b32 s9, s26
	s_delay_alu instid0(SALU_CYCLE_1)
	s_xor_b32 s9, exec_lo, s9
	s_cbranch_execz .LBB4_72
; %bb.58:                               ;   in Loop: Header=BB4_42 Depth=1
	v_add_co_u32 v0, s26, s1, v44
	s_delay_alu instid0(VALU_DEP_1)
	v_add_co_ci_u32_e64 v1, null, s27, 0, s26
	s_mov_b32 s31, -1
	s_mov_b32 s26, exec_lo
	s_waitcnt lgkmcnt(0)
	s_barrier
	buffer_gl0_inv
                                        ; implicit-def: $sgpr30
                                        ; implicit-def: $sgpr29
	v_cmpx_gt_i64_e64 s[36:37], v[0:1]
	s_cbranch_execz .LBB4_69
; %bb.59:                               ;   in Loop: Header=BB4_42 Depth=1
	v_add_co_u32 v2, s1, s1, v42
	s_delay_alu instid0(VALU_DEP_1) | instskip(SKIP_3) | instid1(VALU_DEP_3)
	v_add_co_ci_u32_e64 v3, null, s27, 0, s1
	v_add_lshl_u32 v9, v42, s10, 2
	v_mov_b32_e32 v10, v8
	s_add_u32 s27, s10, s8
	v_cmp_gt_i64_e32 vcc_lo, s[36:37], v[2:3]
	s_mov_b32 s8, 0
                                        ; implicit-def: $sgpr10
                                        ; implicit-def: $sgpr30
                                        ; implicit-def: $sgpr29
	s_branch .LBB4_62
.LBB4_60:                               ;   in Loop: Header=BB4_62 Depth=2
	s_set_inst_prefetch_distance 0x2
	s_or_b32 exec_lo, exec_lo, s33
	v_add_co_u32 v0, s1, v0, s44
	s_delay_alu instid0(VALU_DEP_1) | instskip(SKIP_3) | instid1(VALU_DEP_2)
	v_add_co_ci_u32_e64 v1, s1, 0, v1, s1
	v_subrev_nc_u32_e32 v10, s44, v10
	s_and_not1_b32 s30, s30, exec_lo
	s_and_not1_b32 s29, s29, exec_lo
	v_cmp_le_i64_e64 s1, s[36:37], v[0:1]
	s_delay_alu instid0(VALU_DEP_1) | instskip(NEXT) | instid1(SALU_CYCLE_1)
	s_and_b32 s1, s1, exec_lo
	s_or_b32 s30, s30, s1
.LBB4_61:                               ;   in Loop: Header=BB4_62 Depth=2
	s_or_b32 exec_lo, exec_lo, s31
	s_xor_b32 s1, s29, -1
	s_and_b32 s31, exec_lo, s30
	s_delay_alu instid0(SALU_CYCLE_1) | instskip(SKIP_2) | instid1(SALU_CYCLE_1)
	s_or_b32 s8, s31, s8
	s_and_not1_b32 s10, s10, exec_lo
	s_and_b32 s1, s1, exec_lo
	s_or_b32 s10, s10, s1
	s_and_not1_b32 exec_lo, exec_lo, s8
	s_cbranch_execz .LBB4_68
.LBB4_62:                               ;   Parent Loop BB4_42 Depth=1
                                        ; =>  This Loop Header: Depth=2
                                        ;       Child Loop BB4_66 Depth 3
	s_or_b32 s29, s29, exec_lo
	s_or_b32 s30, s30, exec_lo
	s_mov_b32 s31, exec_lo
	v_cmpx_le_u64_e64 s[6:7], v[0:1]
	s_cbranch_execz .LBB4_61
; %bb.63:                               ;   in Loop: Header=BB4_62 Depth=2
	s_and_saveexec_b32 s33, vcc_lo
	s_cbranch_execz .LBB4_60
; %bb.64:                               ;   in Loop: Header=BB4_62 Depth=2
	s_waitcnt lgkmcnt(0)
	v_sub_co_u32 v11, s1, s4, v0
	s_delay_alu instid0(VALU_DEP_1) | instskip(SKIP_1) | instid1(VALU_DEP_2)
	v_sub_co_ci_u32_e64 v4, s1, s5, v1, s1
	s_mov_b32 s48, 0
	v_mul_lo_u32 v13, v11, v1
	s_mov_b32 s49, 0
	s_delay_alu instid0(VALU_DEP_2) | instskip(SKIP_2) | instid1(VALU_DEP_2)
	v_mul_lo_u32 v12, v4, v0
	v_mad_u64_u32 v[4:5], null, v11, v0, 0
	v_add_nc_u32_e32 v11, s27, v0
	v_add3_u32 v5, v5, v13, v12
	s_delay_alu instid0(VALU_DEP_1) | instskip(NEXT) | instid1(VALU_DEP_1)
	v_lshrrev_b32_e32 v5, 31, v5
	v_add_nc_u32_e32 v4, v4, v5
	s_delay_alu instid0(VALU_DEP_1) | instskip(NEXT) | instid1(VALU_DEP_1)
	v_lshrrev_b32_e32 v4, 1, v4
	v_add_lshl_u32 v12, v10, v4, 2
	v_dual_mov_b32 v5, v3 :: v_dual_mov_b32 v4, v2
	v_lshl_add_u32 v11, v11, 2, 0
	ds_load_b32 v11, v11
	s_set_inst_prefetch_distance 0x1
	s_branch .LBB4_66
	.p2align	6
.LBB4_65:                               ;   in Loop: Header=BB4_66 Depth=3
	s_or_b32 exec_lo, exec_lo, s50
	v_add_co_u32 v4, s1, v4, s34
	s_delay_alu instid0(VALU_DEP_1) | instskip(SKIP_1) | instid1(VALU_DEP_1)
	v_add_co_ci_u32_e64 v5, s1, 0, v5, s1
	s_add_i32 s49, s49, s16
	v_cmp_le_i64_e64 s1, s[36:37], v[4:5]
	s_delay_alu instid0(VALU_DEP_1) | instskip(NEXT) | instid1(SALU_CYCLE_1)
	s_or_b32 s48, s1, s48
	s_and_not1_b32 exec_lo, exec_lo, s48
	s_cbranch_execz .LBB4_60
.LBB4_66:                               ;   Parent Loop BB4_42 Depth=1
                                        ;     Parent Loop BB4_62 Depth=2
                                        ; =>    This Inner Loop Header: Depth=3
	s_mov_b32 s50, exec_lo
	v_cmpx_ge_u64_e64 v[4:5], v[0:1]
	s_cbranch_execz .LBB4_65
; %bb.67:                               ;   in Loop: Header=BB4_66 Depth=3
	v_add_nc_u32_e32 v13, s49, v9
	v_add_nc_u32_e32 v14, s49, v12
	ds_load_b32 v13, v13 offset:4
	ds_load_b32 v15, v14
	s_waitcnt lgkmcnt(0)
	v_fma_f32 v13, -v11, v13, v15
	ds_store_b32 v14, v13
	s_branch .LBB4_65
.LBB4_68:                               ;   in Loop: Header=BB4_42 Depth=1
	s_or_b32 exec_lo, exec_lo, s8
	s_mov_b32 s29, 0
	s_mov_b32 s30, -1
	s_or_not1_b32 s31, s10, exec_lo
.LBB4_69:                               ;   in Loop: Header=BB4_42 Depth=1
	s_or_b32 exec_lo, exec_lo, s26
	s_mov_b32 s1, s18
	s_and_saveexec_b32 s8, s31
	s_cbranch_execz .LBB4_71
; %bb.70:                               ;   in Loop: Header=BB4_42 Depth=1
	s_or_b32 s1, s18, exec_lo
	s_waitcnt lgkmcnt(0)
	s_barrier
	buffer_gl0_inv
                                        ; implicit-def: $sgpr30
                                        ; implicit-def: $sgpr29
.LBB4_71:                               ;   in Loop: Header=BB4_42 Depth=1
	s_or_b32 exec_lo, exec_lo, s8
	s_delay_alu instid0(SALU_CYCLE_1)
	s_and_not1_b32 s8, s19, exec_lo
	s_and_b32 s10, s30, exec_lo
	s_and_not1_b32 s18, s18, exec_lo
	s_or_b32 s19, s8, s10
	s_and_not1_b32 s8, s20, exec_lo
	s_and_b32 s10, s29, exec_lo
	s_and_b32 s1, s1, exec_lo
	s_or_b32 s20, s8, s10
	s_or_b32 s18, s18, s1
.LBB4_72:                               ;   in Loop: Header=BB4_42 Depth=1
	s_or_b32 exec_lo, exec_lo, s9
	s_mov_b32 s10, -1
                                        ; implicit-def: $sgpr8_sgpr9
	s_and_saveexec_b32 s1, s18
	s_delay_alu instid0(SALU_CYCLE_1)
	s_xor_b32 s1, exec_lo, s1
	s_cbranch_execz .LBB4_41
.LBB4_73:                               ;   in Loop: Header=BB4_42 Depth=1
	s_and_b32 vcc_lo, exec_lo, s11
                                        ; implicit-def: $sgpr8_sgpr9
	s_cbranch_vccz .LBB4_40
; %bb.74:                               ;   in Loop: Header=BB4_42 Depth=1
	s_add_u32 s26, s6, 1
	s_addc_u32 s27, s7, 0
	s_not_b64 s[8:9], s[6:7]
	s_cmp_eq_u64 s[26:27], s[36:37]
	s_mov_b64 s[6:7], s[26:27]
	s_cselect_b32 s10, -1, 0
	s_branch .LBB4_40
.LBB4_75:
	s_or_b32 exec_lo, exec_lo, s13
	s_mov_b32 s0, 0
	s_mov_b32 s26, -1
	s_mov_b32 s27, 0
	s_and_saveexec_b32 s1, s17
	s_delay_alu instid0(SALU_CYCLE_1)
	s_xor_b32 s1, exec_lo, s1
; %bb.76:
	s_mov_b32 s27, exec_lo
	s_xor_b32 s26, exec_lo, -1
	s_and_b32 s0, s14, exec_lo
; %bb.77:
	s_or_b32 exec_lo, exec_lo, s1
	s_mov_b32 s48, s35
	s_and_saveexec_b32 s29, s0
	s_cbranch_execnz .LBB4_81
.LBB4_78:
	s_or_b32 exec_lo, exec_lo, s29
	s_and_saveexec_b32 s0, s27
	s_delay_alu instid0(SALU_CYCLE_1)
	s_xor_b32 s21, exec_lo, s0
	s_cbranch_execz .LBB4_116
.LBB4_79:
	s_add_u32 s8, s22, 56
	s_addc_u32 s9, s23, 0
	s_getpc_b64 s[0:1]
	s_add_u32 s0, s0, .str.8@rel32@lo+4
	s_addc_u32 s1, s1, .str.8@rel32@hi+12
	s_getpc_b64 s[2:3]
	s_add_u32 s2, s2, __PRETTY_FUNCTION__._ZN9rocsolver6v33100L9idx_lowerIlEET_S2_S2_S2_@rel32@lo+4
	s_addc_u32 s3, s3, __PRETTY_FUNCTION__._ZN9rocsolver6v33100L9idx_lowerIlEET_S2_S2_S2_@rel32@hi+12
	v_dual_mov_b32 v0, s0 :: v_dual_mov_b32 v1, s1
	v_dual_mov_b32 v2, 0x51 :: v_dual_mov_b32 v3, s2
	v_mov_b32_e32 v4, s3
	s_getpc_b64 s[4:5]
	s_add_u32 s4, s4, __assert_fail@rel32@lo+4
	s_addc_u32 s5, s5, __assert_fail@rel32@hi+12
	s_delay_alu instid0(SALU_CYCLE_1) | instskip(SKIP_3) | instid1(SALU_CYCLE_1)
	s_swappc_b64 s[30:31], s[4:5]
	s_or_b32 s48, s48, exec_lo
	s_or_b32 exec_lo, exec_lo, s21
	s_and_saveexec_b32 s0, s26
	s_xor_b32 s21, exec_lo, s0
	s_cbranch_execnz .LBB4_117
	s_branch .LBB4_118
.LBB4_80:
	s_mov_b32 s0, -1
	s_mov_b32 s27, 0
	s_mov_b32 s26, 0
	;; [unrolled: 1-line block ×3, first 2 shown]
	s_and_saveexec_b32 s29, s0
	s_cbranch_execz .LBB4_78
.LBB4_81:
	s_mov_b32 s1, -1
	s_mov_b32 s48, 0
	s_and_b32 vcc_lo, exec_lo, s47
	s_mov_b32 s0, 0
	s_mov_b32 s47, s35
	s_waitcnt lgkmcnt(0)
	s_waitcnt_vscnt null, 0x0
	s_barrier
	buffer_gl0_inv
	s_cbranch_vccz .LBB4_93
; %bb.82:
	s_mov_b32 s0, -1
	s_mov_b32 s47, s35
	s_and_saveexec_b32 s49, s21
	s_cbranch_execz .LBB4_108
; %bb.83:
	v_mad_u64_u32 v[0:1], null, s42, v44, 0
	s_mul_i32 s0, s25, s28
	s_mul_hi_u32 s5, s24, s28
	s_mul_i32 s4, s24, s28
	s_add_i32 s5, s5, s0
	s_lshl_b64 s[2:3], s[36:37], 1
	s_lshl_b64 s[6:7], s[40:41], 2
	s_delay_alu instid0(VALU_DEP_1)
	v_mad_u64_u32 v[2:3], null, s43, v44, v[1:2]
	s_lshl_b64 s[4:5], s[4:5], 2
	s_or_b32 s2, s2, 1
	s_add_u32 s0, s6, s4
	s_addc_u32 s6, s7, s5
	s_lshl_b64 s[4:5], s[42:43], 2
	s_mov_b32 s1, 0
	s_delay_alu instid0(VALU_DEP_1)
	v_mov_b32_e32 v1, v2
	v_add_lshl_u32 v2, v44, v42, 2
	s_add_u32 s4, s4, 4
	s_addc_u32 s5, s5, 0
	s_lshl_b32 s7, s34, 2
	v_lshlrev_b64 v[0:1], 2, v[0:1]
	s_mul_i32 s5, s5, s44
                                        ; implicit-def: $sgpr8
	s_delay_alu instid0(VALU_DEP_1) | instskip(NEXT) | instid1(VALU_DEP_2)
	v_add_co_u32 v0, vcc_lo, s0, v0
	v_add_co_ci_u32_e32 v1, vcc_lo, s6, v1, vcc_lo
	s_mul_hi_u32 s0, s4, s44
	s_delay_alu instid0(VALU_DEP_2) | instskip(SKIP_1) | instid1(VALU_DEP_3)
	v_add_co_u32 v0, vcc_lo, v0, v2
	v_mov_b32_e32 v2, v44
	v_add_co_ci_u32_e32 v1, vcc_lo, 0, v1, vcc_lo
	s_delay_alu instid0(VALU_DEP_3) | instskip(SKIP_1) | instid1(VALU_DEP_3)
	v_add_co_u32 v0, vcc_lo, s38, v0
	v_mov_b32_e32 v3, v45
	v_add_co_ci_u32_e32 v1, vcc_lo, s39, v1, vcc_lo
	s_add_i32 s5, s0, s5
	s_mul_i32 s6, s4, s44
                                        ; implicit-def: $sgpr4
	s_branch .LBB4_85
.LBB4_84:                               ;   in Loop: Header=BB4_85 Depth=1
	s_or_b32 exec_lo, exec_lo, s9
	s_delay_alu instid0(SALU_CYCLE_1) | instskip(NEXT) | instid1(SALU_CYCLE_1)
	s_and_b32 s0, exec_lo, s10
	s_or_b32 s1, s0, s1
	s_and_not1_b32 s0, s4, exec_lo
	s_and_b32 s4, s8, exec_lo
	s_delay_alu instid0(SALU_CYCLE_1)
	s_or_b32 s4, s0, s4
	s_and_not1_b32 exec_lo, exec_lo, s1
	s_cbranch_execz .LBB4_105
.LBB4_85:                               ; =>This Loop Header: Depth=1
                                        ;     Child Loop BB4_88 Depth 2
	v_add_co_u32 v4, vcc_lo, v2, v42
	v_add_co_ci_u32_e32 v5, vcc_lo, 0, v3, vcc_lo
	s_mov_b32 s0, -1
	s_mov_b32 s9, exec_lo
                                        ; implicit-def: $sgpr10
	s_delay_alu instid0(VALU_DEP_1)
	v_cmpx_gt_i64_e64 s[36:37], v[4:5]
	s_cbranch_execz .LBB4_91
; %bb.86:                               ;   in Loop: Header=BB4_85 Depth=1
	v_sub_co_u32 v8, vcc_lo, s2, v2
	v_sub_co_ci_u32_e32 v6, vcc_lo, s3, v3, vcc_lo
	s_mov_b32 s10, 0
	s_delay_alu instid0(VALU_DEP_2) | instskip(NEXT) | instid1(VALU_DEP_2)
	v_mul_lo_u32 v10, v8, v3
                                        ; implicit-def: $sgpr11
                                        ; implicit-def: $sgpr13
                                        ; implicit-def: $sgpr12
	v_mul_lo_u32 v9, v6, v2
	v_mad_u64_u32 v[6:7], null, v8, v2, 0
	s_delay_alu instid0(VALU_DEP_1) | instskip(NEXT) | instid1(VALU_DEP_1)
	v_add3_u32 v7, v7, v10, v9
	v_lshrrev_b32_e32 v7, 31, v7
	s_delay_alu instid0(VALU_DEP_1) | instskip(NEXT) | instid1(VALU_DEP_1)
	v_add_nc_u32_e32 v6, v6, v7
	v_lshrrev_b32_e32 v6, 1, v6
	s_delay_alu instid0(VALU_DEP_1) | instskip(NEXT) | instid1(VALU_DEP_1)
	v_add_nc_u32_e32 v6, v42, v6
	v_lshl_add_u32 v8, v6, 2, 0
	v_dual_mov_b32 v7, v1 :: v_dual_mov_b32 v6, v0
	s_set_inst_prefetch_distance 0x1
	s_branch .LBB4_88
	.p2align	6
.LBB4_87:                               ;   in Loop: Header=BB4_88 Depth=2
	s_or_b32 exec_lo, exec_lo, s14
	s_xor_b32 s0, s12, -1
	s_and_b32 s14, exec_lo, s13
	s_delay_alu instid0(SALU_CYCLE_1) | instskip(SKIP_2) | instid1(SALU_CYCLE_1)
	s_or_b32 s10, s14, s10
	s_and_not1_b32 s11, s11, exec_lo
	s_and_b32 s0, s0, exec_lo
	s_or_b32 s11, s11, s0
	s_and_not1_b32 exec_lo, exec_lo, s10
	s_cbranch_execz .LBB4_90
.LBB4_88:                               ;   Parent Loop BB4_85 Depth=1
                                        ; =>  This Inner Loop Header: Depth=2
	s_or_b32 s12, s12, exec_lo
	s_or_b32 s13, s13, exec_lo
	s_mov_b32 s14, exec_lo
	v_cmpx_ge_u64_e64 v[4:5], v[2:3]
	s_cbranch_execz .LBB4_87
; %bb.89:                               ;   in Loop: Header=BB4_88 Depth=2
	ds_load_b32 v9, v8
	v_add_co_u32 v4, vcc_lo, v4, s34
	v_add_co_ci_u32_e32 v5, vcc_lo, 0, v5, vcc_lo
	v_add_nc_u32_e32 v8, s7, v8
	s_and_not1_b32 s12, s12, exec_lo
	s_delay_alu instid0(VALU_DEP_2) | instskip(SKIP_3) | instid1(VALU_DEP_1)
	v_cmp_le_i64_e32 vcc_lo, s[36:37], v[4:5]
	s_waitcnt lgkmcnt(0)
	global_store_b32 v[6:7], v9, off
	v_add_co_u32 v6, s0, v6, s7
	v_add_co_ci_u32_e64 v7, s0, 0, v7, s0
	s_and_not1_b32 s0, s13, exec_lo
	s_and_b32 s13, vcc_lo, exec_lo
	s_delay_alu instid0(SALU_CYCLE_1)
	s_or_b32 s13, s0, s13
	s_branch .LBB4_87
.LBB4_90:                               ;   in Loop: Header=BB4_85 Depth=1
	s_set_inst_prefetch_distance 0x2
	s_or_b32 exec_lo, exec_lo, s10
	s_mov_b32 s10, -1
	s_or_not1_b32 s0, s11, exec_lo
.LBB4_91:                               ;   in Loop: Header=BB4_85 Depth=1
	s_or_b32 exec_lo, exec_lo, s9
	s_delay_alu instid0(SALU_CYCLE_1)
	s_and_not1_b32 s8, s8, exec_lo
	s_and_b32 s9, s10, exec_lo
	s_mov_b32 s10, -1
	s_or_b32 s8, s8, s9
	s_and_saveexec_b32 s9, s0
	s_cbranch_execz .LBB4_84
; %bb.92:                               ;   in Loop: Header=BB4_85 Depth=1
	v_add_co_u32 v2, vcc_lo, v2, s44
	v_add_co_ci_u32_e32 v3, vcc_lo, 0, v3, vcc_lo
	v_add_co_u32 v0, s0, v0, s6
	s_delay_alu instid0(VALU_DEP_1) | instskip(NEXT) | instid1(VALU_DEP_3)
	v_add_co_ci_u32_e64 v1, s0, s5, v1, s0
	v_cmp_le_i64_e32 vcc_lo, s[36:37], v[2:3]
	s_and_not1_b32 s8, s8, exec_lo
	s_or_not1_b32 s10, vcc_lo, exec_lo
	s_branch .LBB4_84
.LBB4_93:
	s_and_b32 vcc_lo, exec_lo, s1
	s_cbranch_vccz .LBB4_109
; %bb.94:
	s_mov_b32 s0, -1
	s_mov_b32 s48, 0
	s_and_saveexec_b32 s1, s21
	s_cbranch_execz .LBB4_112
; %bb.95:
	v_mad_u64_u32 v[0:1], null, s42, v44, 0
	s_mul_i32 s0, s25, s28
	s_mul_hi_u32 s5, s24, s28
	s_lshl_b64 s[2:3], s[36:37], 1
	s_mul_i32 s4, s24, s28
	s_add_i32 s5, s5, s0
	s_lshl_b64 s[6:7], s[40:41], 2
	s_delay_alu instid0(VALU_DEP_1)
	v_mad_u64_u32 v[2:3], null, s43, v44, v[1:2]
	s_lshl_b64 s[4:5], s[4:5], 2
	v_lshlrev_b32_e32 v3, 2, v42
	s_mul_i32 s8, s43, s44
	s_mul_hi_u32 s0, s42, s44
	v_mov_b32_e32 v43, 0
	v_sub_nc_u32_e32 v10, v44, v42
	s_delay_alu instid0(VALU_DEP_4) | instskip(SKIP_1) | instid1(VALU_DEP_1)
	v_mov_b32_e32 v1, v2
	v_sub_co_u32 v2, s2, s2, v42
	v_sub_co_ci_u32_e64 v4, null, s3, 0, s2
	s_delay_alu instid0(VALU_DEP_3) | instskip(SKIP_4) | instid1(VALU_DEP_1)
	v_lshlrev_b64 v[0:1], 2, v[0:1]
	s_add_u32 s2, s6, s4
	s_addc_u32 s3, s7, s5
	s_mov_b32 s4, 0
	s_lshl_b32 s5, s34, 2
                                        ; implicit-def: $sgpr6
	v_add_co_u32 v5, vcc_lo, s2, v0
	v_add_co_ci_u32_e32 v6, vcc_lo, s3, v1, vcc_lo
	v_add_co_u32 v0, vcc_lo, v2, 1
	v_add_co_ci_u32_e32 v1, vcc_lo, 0, v4, vcc_lo
	s_delay_alu instid0(VALU_DEP_4) | instskip(NEXT) | instid1(VALU_DEP_4)
	v_add_co_u32 v2, vcc_lo, v5, v3
	v_add_co_ci_u32_e32 v3, vcc_lo, 0, v6, vcc_lo
	s_add_i32 s3, s0, s8
	s_delay_alu instid0(VALU_DEP_2) | instskip(NEXT) | instid1(VALU_DEP_2)
	v_add_co_u32 v2, vcc_lo, s38, v2
	v_add_co_ci_u32_e32 v3, vcc_lo, s39, v3, vcc_lo
	s_mul_i32 s2, s42, s44
	s_delay_alu instid0(SALU_CYCLE_1)
	s_lshl_b64 s[2:3], s[2:3], 2
	s_branch .LBB4_97
.LBB4_96:                               ;   in Loop: Header=BB4_97 Depth=1
	s_or_b32 exec_lo, exec_lo, s7
	s_xor_b32 s7, s8, -1
	s_and_b32 s0, exec_lo, s0
	s_delay_alu instid0(SALU_CYCLE_1) | instskip(SKIP_2) | instid1(SALU_CYCLE_1)
	s_or_b32 s4, s0, s4
	s_and_not1_b32 s0, s6, exec_lo
	s_and_b32 s6, s7, exec_lo
	s_or_b32 s6, s0, s6
	s_and_not1_b32 exec_lo, exec_lo, s4
	s_cbranch_execz .LBB4_111
.LBB4_97:                               ; =>This Loop Header: Depth=1
                                        ;     Child Loop BB4_100 Depth 2
	s_mov_b32 s9, -1
	s_mov_b32 s7, exec_lo
                                        ; implicit-def: $sgpr8
	v_cmpx_ge_u64_e64 v[44:45], v[42:43]
	s_cbranch_execz .LBB4_103
; %bb.98:                               ;   in Loop: Header=BB4_97 Depth=1
	v_dual_mov_b32 v7, v1 :: v_dual_mov_b32 v8, v42
	v_dual_mov_b32 v5, v3 :: v_dual_mov_b32 v4, v2
	v_dual_mov_b32 v11, v10 :: v_dual_mov_b32 v6, v0
	v_mov_b32_e32 v9, v43
	s_mov_b32 s8, 0
                                        ; implicit-def: $sgpr9
                                        ; implicit-def: $sgpr11
                                        ; implicit-def: $sgpr10
	s_branch .LBB4_100
.LBB4_99:                               ;   in Loop: Header=BB4_100 Depth=2
	s_or_b32 exec_lo, exec_lo, s12
	s_xor_b32 s0, s10, -1
	s_and_b32 s12, exec_lo, s11
	s_delay_alu instid0(SALU_CYCLE_1) | instskip(SKIP_2) | instid1(SALU_CYCLE_1)
	s_or_b32 s8, s12, s8
	s_and_not1_b32 s9, s9, exec_lo
	s_and_b32 s0, s0, exec_lo
	s_or_b32 s9, s9, s0
	s_and_not1_b32 exec_lo, exec_lo, s8
	s_cbranch_execz .LBB4_102
.LBB4_100:                              ;   Parent Loop BB4_97 Depth=1
                                        ; =>  This Inner Loop Header: Depth=2
	s_or_b32 s10, s10, exec_lo
	s_or_b32 s11, s11, exec_lo
	s_mov_b32 s12, exec_lo
	v_cmpx_gt_i64_e64 s[36:37], v[8:9]
	s_cbranch_execz .LBB4_99
; %bb.101:                              ;   in Loop: Header=BB4_100 Depth=2
	v_mul_lo_u32 v14, v7, v8
	v_mul_lo_u32 v15, v6, v9
	v_mad_u64_u32 v[12:13], null, v6, v8, 0
	v_add_co_u32 v8, vcc_lo, v8, s34
	v_add_co_ci_u32_e32 v9, vcc_lo, 0, v9, vcc_lo
	v_sub_co_u32 v6, vcc_lo, v6, s34
	s_delay_alu instid0(VALU_DEP_4) | instskip(SKIP_1) | instid1(VALU_DEP_4)
	v_add3_u32 v13, v13, v15, v14
	v_subrev_co_ci_u32_e32 v7, vcc_lo, 0, v7, vcc_lo
	v_cmp_gt_u64_e32 vcc_lo, v[8:9], v[44:45]
	s_and_not1_b32 s10, s10, exec_lo
	s_delay_alu instid0(VALU_DEP_3) | instskip(NEXT) | instid1(VALU_DEP_1)
	v_lshrrev_b32_e32 v13, 31, v13
	v_add_nc_u32_e32 v12, v12, v13
	s_delay_alu instid0(VALU_DEP_1) | instskip(NEXT) | instid1(VALU_DEP_1)
	v_lshrrev_b32_e32 v12, 1, v12
	v_add_nc_u32_e32 v12, v11, v12
	v_subrev_nc_u32_e32 v11, s34, v11
	s_delay_alu instid0(VALU_DEP_2) | instskip(SKIP_4) | instid1(VALU_DEP_1)
	v_lshl_add_u32 v12, v12, 2, 0
	ds_load_b32 v12, v12
	s_waitcnt lgkmcnt(0)
	global_store_b32 v[4:5], v12, off
	v_add_co_u32 v4, s0, v4, s5
	v_add_co_ci_u32_e64 v5, s0, 0, v5, s0
	s_and_not1_b32 s0, s11, exec_lo
	s_and_b32 s11, vcc_lo, exec_lo
	s_delay_alu instid0(SALU_CYCLE_1)
	s_or_b32 s11, s0, s11
	s_branch .LBB4_99
.LBB4_102:                              ;   in Loop: Header=BB4_97 Depth=1
	s_or_b32 exec_lo, exec_lo, s8
	s_mov_b32 s8, -1
	s_or_not1_b32 s9, s9, exec_lo
.LBB4_103:                              ;   in Loop: Header=BB4_97 Depth=1
	s_or_b32 exec_lo, exec_lo, s7
	s_mov_b32 s0, -1
	s_and_saveexec_b32 s7, s9
	s_cbranch_execz .LBB4_96
; %bb.104:                              ;   in Loop: Header=BB4_97 Depth=1
	v_add_co_u32 v44, vcc_lo, v44, s44
	v_add_co_ci_u32_e32 v45, vcc_lo, 0, v45, vcc_lo
	v_add_co_u32 v2, s0, v2, s2
	v_add_nc_u32_e32 v10, s44, v10
	s_delay_alu instid0(VALU_DEP_3)
	v_cmp_le_i64_e32 vcc_lo, s[36:37], v[44:45]
	v_add_co_ci_u32_e64 v3, s0, s3, v3, s0
	s_and_not1_b32 s8, s8, exec_lo
	s_or_not1_b32 s0, vcc_lo, exec_lo
	s_branch .LBB4_96
.LBB4_105:
	s_or_b32 exec_lo, exec_lo, s1
	s_mov_b32 s0, -1
	s_mov_b32 s1, s35
	s_and_saveexec_b32 s2, s4
	s_delay_alu instid0(SALU_CYCLE_1)
	s_xor_b32 s47, exec_lo, s2
	s_cbranch_execz .LBB4_107
; %bb.106:
	s_add_u32 s8, s22, 56
	s_addc_u32 s9, s23, 0
	s_getpc_b64 s[0:1]
	s_add_u32 s0, s0, .str.8@rel32@lo+4
	s_addc_u32 s1, s1, .str.8@rel32@hi+12
	s_getpc_b64 s[2:3]
	s_add_u32 s2, s2, __PRETTY_FUNCTION__._ZN9rocsolver6v33100L9idx_lowerIlEET_S2_S2_S2_@rel32@lo+4
	s_addc_u32 s3, s3, __PRETTY_FUNCTION__._ZN9rocsolver6v33100L9idx_lowerIlEET_S2_S2_S2_@rel32@hi+12
	v_dual_mov_b32 v0, s0 :: v_dual_mov_b32 v1, s1
	v_dual_mov_b32 v2, 0x51 :: v_dual_mov_b32 v3, s2
	v_mov_b32_e32 v4, s3
	s_getpc_b64 s[4:5]
	s_add_u32 s4, s4, __assert_fail@rel32@lo+4
	s_addc_u32 s5, s5, __assert_fail@rel32@hi+12
	s_delay_alu instid0(SALU_CYCLE_1)
	s_swappc_b64 s[30:31], s[4:5]
	s_or_b32 s1, s35, exec_lo
	s_xor_b32 s0, exec_lo, -1
.LBB4_107:
	s_or_b32 exec_lo, exec_lo, s47
	s_delay_alu instid0(SALU_CYCLE_1)
	s_and_not1_b32 s2, s35, exec_lo
	s_and_b32 s1, s1, exec_lo
	s_or_not1_b32 s0, s0, exec_lo
	s_or_b32 s47, s2, s1
.LBB4_108:
	s_or_b32 exec_lo, exec_lo, s49
.LBB4_109:
	s_and_saveexec_b32 s1, s0
	s_cbranch_execz .LBB4_113
.LBB4_110:
	s_waitcnt_vscnt null, 0x0
	s_barrier
	s_and_not1_b32 s48, s48, exec_lo
	buffer_gl0_inv
	s_or_b32 exec_lo, exec_lo, s1
	s_and_saveexec_b32 s0, s48
	s_delay_alu instid0(SALU_CYCLE_1)
	s_xor_b32 s21, exec_lo, s0
	s_cbranch_execnz .LBB4_114
	s_branch .LBB4_115
.LBB4_111:
	s_or_b32 exec_lo, exec_lo, s4
	s_delay_alu instid0(SALU_CYCLE_1)
	s_mov_b32 s48, exec_lo
	s_or_not1_b32 s0, s6, exec_lo
.LBB4_112:
	s_or_b32 exec_lo, exec_lo, s1
	s_and_saveexec_b32 s1, s0
	s_cbranch_execnz .LBB4_110
.LBB4_113:
	s_or_b32 exec_lo, exec_lo, s1
	s_and_saveexec_b32 s0, s48
	s_delay_alu instid0(SALU_CYCLE_1)
	s_xor_b32 s21, exec_lo, s0
	s_cbranch_execz .LBB4_115
.LBB4_114:
	s_add_u32 s8, s22, 56
	s_addc_u32 s9, s23, 0
	s_getpc_b64 s[0:1]
	s_add_u32 s0, s0, .str.7@rel32@lo+4
	s_addc_u32 s1, s1, .str.7@rel32@hi+12
	s_getpc_b64 s[2:3]
	s_add_u32 s2, s2, __PRETTY_FUNCTION__._ZN9rocsolver6v33100L9idx_lowerIlEET_S2_S2_S2_@rel32@lo+4
	s_addc_u32 s3, s3, __PRETTY_FUNCTION__._ZN9rocsolver6v33100L9idx_lowerIlEET_S2_S2_S2_@rel32@hi+12
	v_dual_mov_b32 v0, s0 :: v_dual_mov_b32 v1, s1
	v_dual_mov_b32 v2, 0x50 :: v_dual_mov_b32 v3, s2
	v_mov_b32_e32 v4, s3
	s_getpc_b64 s[4:5]
	s_add_u32 s4, s4, __assert_fail@rel32@lo+4
	s_addc_u32 s5, s5, __assert_fail@rel32@hi+12
	s_delay_alu instid0(SALU_CYCLE_1)
	s_swappc_b64 s[30:31], s[4:5]
	s_or_b32 s47, s47, exec_lo
.LBB4_115:
	s_or_b32 exec_lo, exec_lo, s21
	s_delay_alu instid0(SALU_CYCLE_1)
	s_and_not1_b32 s0, s35, exec_lo
	s_and_b32 s1, s47, exec_lo
	s_and_not1_b32 s27, s27, exec_lo
	s_or_b32 s48, s0, s1
	s_or_b32 exec_lo, exec_lo, s29
	s_and_saveexec_b32 s0, s27
	s_delay_alu instid0(SALU_CYCLE_1)
	s_xor_b32 s21, exec_lo, s0
	s_cbranch_execnz .LBB4_79
.LBB4_116:
	s_or_b32 exec_lo, exec_lo, s21
	s_and_saveexec_b32 s0, s26
	s_delay_alu instid0(SALU_CYCLE_1)
	s_xor_b32 s21, exec_lo, s0
	s_cbranch_execz .LBB4_118
.LBB4_117:
	s_add_u32 s8, s22, 56
	s_addc_u32 s9, s23, 0
	s_getpc_b64 s[0:1]
	s_add_u32 s0, s0, .str.8@rel32@lo+4
	s_addc_u32 s1, s1, .str.8@rel32@hi+12
	s_getpc_b64 s[2:3]
	s_add_u32 s2, s2, __PRETTY_FUNCTION__._ZN9rocsolver6v33100L9idx_lowerIlEET_S2_S2_S2_@rel32@lo+4
	s_addc_u32 s3, s3, __PRETTY_FUNCTION__._ZN9rocsolver6v33100L9idx_lowerIlEET_S2_S2_S2_@rel32@hi+12
	v_dual_mov_b32 v0, s0 :: v_dual_mov_b32 v1, s1
	v_dual_mov_b32 v2, 0x51 :: v_dual_mov_b32 v3, s2
	v_mov_b32_e32 v4, s3
	s_getpc_b64 s[4:5]
	s_add_u32 s4, s4, __assert_fail@rel32@lo+4
	s_addc_u32 s5, s5, __assert_fail@rel32@hi+12
	s_delay_alu instid0(SALU_CYCLE_1)
	s_swappc_b64 s[30:31], s[4:5]
	s_or_b32 s48, s48, exec_lo
.LBB4_118:
	s_or_b32 exec_lo, exec_lo, s21
	s_delay_alu instid0(SALU_CYCLE_1)
	s_and_not1_b32 s0, s35, exec_lo
	s_and_b32 s1, s48, exec_lo
	s_and_not1_b32 s45, s45, exec_lo
	s_or_b32 s35, s0, s1
.LBB4_119:
	s_or_b32 exec_lo, exec_lo, s46
	s_and_saveexec_b32 s0, s45
	s_delay_alu instid0(SALU_CYCLE_1)
	s_xor_b32 s21, exec_lo, s0
	s_cbranch_execz .LBB4_121
; %bb.120:
	s_add_u32 s8, s22, 56
	s_addc_u32 s9, s23, 0
	s_getpc_b64 s[0:1]
	s_add_u32 s0, s0, .str.7@rel32@lo+4
	s_addc_u32 s1, s1, .str.7@rel32@hi+12
	s_getpc_b64 s[2:3]
	s_add_u32 s2, s2, __PRETTY_FUNCTION__._ZN9rocsolver6v33100L9idx_lowerIlEET_S2_S2_S2_@rel32@lo+4
	s_addc_u32 s3, s3, __PRETTY_FUNCTION__._ZN9rocsolver6v33100L9idx_lowerIlEET_S2_S2_S2_@rel32@hi+12
	v_dual_mov_b32 v0, s0 :: v_dual_mov_b32 v1, s1
	v_dual_mov_b32 v2, 0x50 :: v_dual_mov_b32 v3, s2
	v_mov_b32_e32 v4, s3
	s_getpc_b64 s[4:5]
	s_add_u32 s4, s4, __assert_fail@rel32@lo+4
	s_addc_u32 s5, s5, __assert_fail@rel32@hi+12
	s_delay_alu instid0(SALU_CYCLE_1)
	s_swappc_b64 s[30:31], s[4:5]
	s_or_b32 s35, s35, exec_lo
.LBB4_121:
	s_or_b32 exec_lo, exec_lo, s21
	s_branch .LBB4_123
.LBB4_122:
	s_add_u32 s8, s22, 56
	s_addc_u32 s9, s23, 0
	s_getpc_b64 s[0:1]
	s_add_u32 s0, s0, .str.3@rel32@lo+4
	s_addc_u32 s1, s1, .str.3@rel32@hi+12
	s_getpc_b64 s[2:3]
	s_add_u32 s2, s2, __PRETTY_FUNCTION__._ZN9rocsolver6v33100L18potf2_kernel_smallIfllPfEEvbT0_T2_lS3_lPT1_@rel32@lo+4
	s_addc_u32 s3, s3, __PRETTY_FUNCTION__._ZN9rocsolver6v33100L18potf2_kernel_smallIfllPfEEvbT0_T2_lS3_lPT1_@rel32@hi+12
	v_dual_mov_b32 v0, s0 :: v_dual_mov_b32 v1, s1
	v_dual_mov_b32 v2, 0x12c :: v_dual_mov_b32 v3, s2
	v_mov_b32_e32 v4, s3
	s_getpc_b64 s[4:5]
	s_add_u32 s4, s4, __assert_fail@rel32@lo+4
	s_addc_u32 s5, s5, __assert_fail@rel32@hi+12
	s_delay_alu instid0(SALU_CYCLE_1)
	s_swappc_b64 s[30:31], s[4:5]
	s_or_b32 s35, s35, exec_lo
.LBB4_123:
	s_branch .LBB4_125
.LBB4_124:
	s_add_u32 s8, s22, 56
	s_addc_u32 s9, s23, 0
	s_getpc_b64 s[0:1]
	s_add_u32 s0, s0, .str.2@rel32@lo+4
	s_addc_u32 s1, s1, .str.2@rel32@hi+12
	s_getpc_b64 s[2:3]
	s_add_u32 s2, s2, __PRETTY_FUNCTION__._ZN9rocsolver6v33100L18potf2_kernel_smallIfllPfEEvbT0_T2_lS3_lPT1_@rel32@lo+4
	s_addc_u32 s3, s3, __PRETTY_FUNCTION__._ZN9rocsolver6v33100L18potf2_kernel_smallIfllPfEEvbT0_T2_lS3_lPT1_@rel32@hi+12
	v_dual_mov_b32 v0, s0 :: v_dual_mov_b32 v1, s1
	v_dual_mov_b32 v2, 0x12b :: v_dual_mov_b32 v3, s2
	v_mov_b32_e32 v4, s3
	s_getpc_b64 s[4:5]
	s_add_u32 s4, s4, __assert_fail@rel32@lo+4
	s_addc_u32 s5, s5, __assert_fail@rel32@hi+12
	s_delay_alu instid0(SALU_CYCLE_1)
	s_swappc_b64 s[30:31], s[4:5]
	s_or_b32 s35, s35, exec_lo
.LBB4_125:
	s_delay_alu instid0(SALU_CYCLE_1)
	s_and_saveexec_b32 s0, s35
; %bb.126:
	; divergent unreachable
; %bb.127:
	s_endpgm
	.section	.rodata,"a",@progbits
	.p2align	6, 0x0
	.amdhsa_kernel _ZN9rocsolver6v33100L18potf2_kernel_smallIfllPfEEvbT0_T2_lS3_lPT1_
		.amdhsa_group_segment_fixed_size 0
		.amdhsa_private_segment_fixed_size 64
		.amdhsa_kernarg_size 312
		.amdhsa_user_sgpr_count 14
		.amdhsa_user_sgpr_dispatch_ptr 0
		.amdhsa_user_sgpr_queue_ptr 0
		.amdhsa_user_sgpr_kernarg_segment_ptr 1
		.amdhsa_user_sgpr_dispatch_id 0
		.amdhsa_user_sgpr_private_segment_size 0
		.amdhsa_wavefront_size32 1
		.amdhsa_uses_dynamic_stack 0
		.amdhsa_enable_private_segment 1
		.amdhsa_system_sgpr_workgroup_id_x 1
		.amdhsa_system_sgpr_workgroup_id_y 0
		.amdhsa_system_sgpr_workgroup_id_z 1
		.amdhsa_system_sgpr_workgroup_info 0
		.amdhsa_system_vgpr_workitem_id 2
		.amdhsa_next_free_vgpr 51
		.amdhsa_next_free_sgpr 51
		.amdhsa_reserve_vcc 1
		.amdhsa_float_round_mode_32 0
		.amdhsa_float_round_mode_16_64 0
		.amdhsa_float_denorm_mode_32 3
		.amdhsa_float_denorm_mode_16_64 3
		.amdhsa_dx10_clamp 1
		.amdhsa_ieee_mode 1
		.amdhsa_fp16_overflow 0
		.amdhsa_workgroup_processor_mode 1
		.amdhsa_memory_ordered 1
		.amdhsa_forward_progress 0
		.amdhsa_shared_vgpr_count 0
		.amdhsa_exception_fp_ieee_invalid_op 0
		.amdhsa_exception_fp_denorm_src 0
		.amdhsa_exception_fp_ieee_div_zero 0
		.amdhsa_exception_fp_ieee_overflow 0
		.amdhsa_exception_fp_ieee_underflow 0
		.amdhsa_exception_fp_ieee_inexact 0
		.amdhsa_exception_int_div_zero 0
	.end_amdhsa_kernel
	.section	.text._ZN9rocsolver6v33100L18potf2_kernel_smallIfllPfEEvbT0_T2_lS3_lPT1_,"axG",@progbits,_ZN9rocsolver6v33100L18potf2_kernel_smallIfllPfEEvbT0_T2_lS3_lPT1_,comdat
.Lfunc_end4:
	.size	_ZN9rocsolver6v33100L18potf2_kernel_smallIfllPfEEvbT0_T2_lS3_lPT1_, .Lfunc_end4-_ZN9rocsolver6v33100L18potf2_kernel_smallIfllPfEEvbT0_T2_lS3_lPT1_
                                        ; -- End function
	.section	.AMDGPU.csdata,"",@progbits
; Kernel info:
; codeLenInByte = 5764
; NumSgprs: 53
; NumVgprs: 51
; ScratchSize: 64
; MemoryBound: 1
; FloatMode: 240
; IeeeMode: 1
; LDSByteSize: 0 bytes/workgroup (compile time only)
; SGPRBlocks: 6
; VGPRBlocks: 6
; NumSGPRsForWavesPerEU: 53
; NumVGPRsForWavesPerEU: 51
; Occupancy: 16
; WaveLimiterHint : 1
; COMPUTE_PGM_RSRC2:SCRATCH_EN: 1
; COMPUTE_PGM_RSRC2:USER_SGPR: 14
; COMPUTE_PGM_RSRC2:TRAP_HANDLER: 0
; COMPUTE_PGM_RSRC2:TGID_X_EN: 1
; COMPUTE_PGM_RSRC2:TGID_Y_EN: 0
; COMPUTE_PGM_RSRC2:TGID_Z_EN: 1
; COMPUTE_PGM_RSRC2:TIDIG_COMP_CNT: 2
	.section	.text._ZN9rocsolver6v33100L18potf2_kernel_smallIfllPKPfEEvbT0_T2_lS5_lPT1_,"axG",@progbits,_ZN9rocsolver6v33100L18potf2_kernel_smallIfllPKPfEEvbT0_T2_lS5_lPT1_,comdat
	.globl	_ZN9rocsolver6v33100L18potf2_kernel_smallIfllPKPfEEvbT0_T2_lS5_lPT1_ ; -- Begin function _ZN9rocsolver6v33100L18potf2_kernel_smallIfllPKPfEEvbT0_T2_lS5_lPT1_
	.p2align	8
	.type	_ZN9rocsolver6v33100L18potf2_kernel_smallIfllPKPfEEvbT0_T2_lS5_lPT1_,@function
_ZN9rocsolver6v33100L18potf2_kernel_smallIfllPKPfEEvbT0_T2_lS5_lPT1_: ; @_ZN9rocsolver6v33100L18potf2_kernel_smallIfllPKPfEEvbT0_T2_lS5_lPT1_
; %bb.0:
	s_load_b64 s[34:35], s[0:1], 0x44
	s_mov_b64 s[22:23], s[0:1]
	v_mov_b32_e32 v41, v0
	s_mov_b32 s28, s15
	s_mov_b32 s32, 0
	s_waitcnt lgkmcnt(0)
	v_cmp_eq_u16_e64 s0, s35, 1
	s_delay_alu instid0(VALU_DEP_1)
	s_and_b32 vcc_lo, exec_lo, s0
	s_cbranch_vccnz .LBB5_2
; %bb.1:
	s_add_u32 s8, s22, 56
	s_addc_u32 s9, s23, 0
	s_getpc_b64 s[0:1]
	s_add_u32 s0, s0, .str@rel32@lo+4
	s_addc_u32 s1, s1, .str@rel32@hi+12
	s_getpc_b64 s[2:3]
	s_add_u32 s2, s2, __PRETTY_FUNCTION__._ZN9rocsolver6v33100L18potf2_kernel_smallIfllPKPfEEvbT0_T2_lS5_lPT1_@rel32@lo+4
	s_addc_u32 s3, s3, __PRETTY_FUNCTION__._ZN9rocsolver6v33100L18potf2_kernel_smallIfllPKPfEEvbT0_T2_lS5_lPT1_@rel32@hi+12
	v_dual_mov_b32 v0, s0 :: v_dual_mov_b32 v1, s1
	v_dual_mov_b32 v2, 0x125 :: v_dual_mov_b32 v3, s2
	v_mov_b32_e32 v4, s3
	s_getpc_b64 s[4:5]
	s_add_u32 s4, s4, __assert_fail@rel32@lo+4
	s_addc_u32 s5, s5, __assert_fail@rel32@hi+12
	s_delay_alu instid0(SALU_CYCLE_1)
	s_swappc_b64 s[30:31], s[4:5]
	s_mov_b32 s35, -1
	s_cbranch_execz .LBB5_3
	s_branch .LBB5_46
.LBB5_2:
	s_mov_b32 s35, 0
.LBB5_3:
	s_load_b256 s[36:43], s[22:23], 0x8
	s_waitcnt lgkmcnt(0)
	s_cmp_lg_u64 s[38:39], 0
	s_cbranch_scc0 .LBB5_18
; %bb.4:
	s_load_b64 s[24:25], s[22:23], 0x30
	s_waitcnt lgkmcnt(0)
	s_cmp_lg_u64 s[24:25], 0
	s_cbranch_scc0 .LBB5_31
; %bb.5:
	s_mov_b32 s29, 0
	v_mov_b32_e32 v43, 0
	s_lshl_b64 s[26:27], s[28:29], 3
	s_delay_alu instid0(SALU_CYCLE_1)
	s_add_u32 s0, s38, s26
	s_addc_u32 s1, s39, s27
	global_load_b64 v[46:47], v43, s[0:1]
	s_waitcnt vmcnt(0)
	v_cmp_ne_u64_e32 vcc_lo, 0, v[46:47]
	s_cbranch_vccz .LBB5_32
; %bb.6:
	s_load_b32 s1, s[22:23], 0x0
	v_bfe_u32 v42, v41, 10, 10
	v_and_b32_e32 v44, 0x3ff, v41
	s_mov_b32 s0, -1
	s_waitcnt lgkmcnt(0)
	s_waitcnt_vscnt null, 0x0
	s_barrier
	v_cmp_gt_i64_e64 s21, s[36:37], v[42:43]
	buffer_gl0_inv
	s_bitcmp1_b32 s1, 0
	s_cselect_b32 s1, -1, 0
	s_lshr_b32 s28, s34, 16
	s_xor_b32 s44, s1, -1
	s_and_b32 s34, s34, 0xffff
	s_and_b32 vcc_lo, exec_lo, s44
	s_cbranch_vccz .LBB5_19
; %bb.7:
	s_mov_b32 s29, -1
	s_and_saveexec_b32 s38, s21
	s_cbranch_execz .LBB5_36
; %bb.8:
	v_mad_u64_u32 v[0:1], null, s42, v42, 0
	s_lshl_b64 s[4:5], s[40:41], 2
	s_lshl_b64 s[2:3], s[36:37], 1
	;; [unrolled: 1-line block ×3, first 2 shown]
	s_or_b32 s2, s2, 1
	s_add_u32 s0, s6, 4
	s_addc_u32 s6, s7, 0
	s_delay_alu instid0(VALU_DEP_1) | instskip(SKIP_3) | instid1(VALU_DEP_1)
	v_mad_u64_u32 v[2:3], null, s43, v42, v[1:2]
	s_mul_i32 s6, s6, s28
	s_mov_b32 s1, 0
	s_lshl_b32 s7, s34, 2
                                        ; implicit-def: $sgpr8
	v_mov_b32_e32 v1, v2
	v_add_lshl_u32 v2, v42, v44, 2
	s_delay_alu instid0(VALU_DEP_2) | instskip(NEXT) | instid1(VALU_DEP_1)
	v_lshlrev_b64 v[0:1], 2, v[0:1]
	v_add_co_u32 v0, vcc_lo, v0, s4
	s_delay_alu instid0(VALU_DEP_2) | instskip(SKIP_1) | instid1(VALU_DEP_2)
	v_add_co_ci_u32_e32 v1, vcc_lo, s5, v1, vcc_lo
	s_mul_hi_u32 s4, s0, s28
	v_add_co_u32 v0, vcc_lo, v0, v2
	s_delay_alu instid0(VALU_DEP_2) | instskip(SKIP_1) | instid1(VALU_DEP_3)
	v_add_co_ci_u32_e32 v1, vcc_lo, 0, v1, vcc_lo
	v_dual_mov_b32 v2, v42 :: v_dual_mov_b32 v3, v43
	v_add_co_u32 v0, vcc_lo, v46, v0
	s_delay_alu instid0(VALU_DEP_3)
	v_add_co_ci_u32_e32 v1, vcc_lo, v47, v1, vcc_lo
	s_add_i32 s5, s4, s6
	s_mul_i32 s6, s0, s28
                                        ; implicit-def: $sgpr4
	s_branch .LBB5_10
.LBB5_9:                                ;   in Loop: Header=BB5_10 Depth=1
	s_or_b32 exec_lo, exec_lo, s9
	s_delay_alu instid0(SALU_CYCLE_1) | instskip(NEXT) | instid1(SALU_CYCLE_1)
	s_and_b32 s0, exec_lo, s10
	s_or_b32 s1, s0, s1
	s_and_not1_b32 s0, s4, exec_lo
	s_and_b32 s4, s8, exec_lo
	s_delay_alu instid0(SALU_CYCLE_1)
	s_or_b32 s4, s0, s4
	s_and_not1_b32 exec_lo, exec_lo, s1
	s_cbranch_execz .LBB5_33
.LBB5_10:                               ; =>This Loop Header: Depth=1
                                        ;     Child Loop BB5_13 Depth 2
	v_add_co_u32 v4, vcc_lo, v2, v44
	v_add_co_ci_u32_e32 v5, vcc_lo, 0, v3, vcc_lo
	s_mov_b32 s0, -1
	s_mov_b32 s9, exec_lo
                                        ; implicit-def: $sgpr10
	s_delay_alu instid0(VALU_DEP_1)
	v_cmpx_gt_i64_e64 s[36:37], v[4:5]
	s_cbranch_execz .LBB5_16
; %bb.11:                               ;   in Loop: Header=BB5_10 Depth=1
	v_sub_co_u32 v8, vcc_lo, s2, v2
	v_sub_co_ci_u32_e32 v6, vcc_lo, s3, v3, vcc_lo
	s_mov_b32 s10, 0
	s_delay_alu instid0(VALU_DEP_2) | instskip(NEXT) | instid1(VALU_DEP_2)
	v_mul_lo_u32 v10, v8, v3
                                        ; implicit-def: $sgpr11
                                        ; implicit-def: $sgpr13
                                        ; implicit-def: $sgpr12
	v_mul_lo_u32 v9, v6, v2
	v_mad_u64_u32 v[6:7], null, v8, v2, 0
	s_delay_alu instid0(VALU_DEP_1) | instskip(NEXT) | instid1(VALU_DEP_1)
	v_add3_u32 v7, v7, v10, v9
	v_lshrrev_b32_e32 v7, 31, v7
	s_delay_alu instid0(VALU_DEP_1) | instskip(NEXT) | instid1(VALU_DEP_1)
	v_add_nc_u32_e32 v6, v6, v7
	v_lshrrev_b32_e32 v6, 1, v6
	s_delay_alu instid0(VALU_DEP_1) | instskip(NEXT) | instid1(VALU_DEP_1)
	v_add_nc_u32_e32 v6, v44, v6
	v_lshl_add_u32 v8, v6, 2, 0
	v_dual_mov_b32 v7, v1 :: v_dual_mov_b32 v6, v0
	s_set_inst_prefetch_distance 0x1
	s_branch .LBB5_13
	.p2align	6
.LBB5_12:                               ;   in Loop: Header=BB5_13 Depth=2
	s_or_b32 exec_lo, exec_lo, s14
	s_xor_b32 s0, s12, -1
	s_and_b32 s14, exec_lo, s13
	s_delay_alu instid0(SALU_CYCLE_1) | instskip(SKIP_2) | instid1(SALU_CYCLE_1)
	s_or_b32 s10, s14, s10
	s_and_not1_b32 s11, s11, exec_lo
	s_and_b32 s0, s0, exec_lo
	s_or_b32 s11, s11, s0
	s_and_not1_b32 exec_lo, exec_lo, s10
	s_cbranch_execz .LBB5_15
.LBB5_13:                               ;   Parent Loop BB5_10 Depth=1
                                        ; =>  This Inner Loop Header: Depth=2
	s_or_b32 s12, s12, exec_lo
	s_or_b32 s13, s13, exec_lo
	s_mov_b32 s14, exec_lo
	v_cmpx_ge_u64_e64 v[4:5], v[2:3]
	s_cbranch_execz .LBB5_12
; %bb.14:                               ;   in Loop: Header=BB5_13 Depth=2
	flat_load_b32 v9, v[6:7]
	v_add_co_u32 v4, vcc_lo, v4, s34
	v_add_co_ci_u32_e32 v5, vcc_lo, 0, v5, vcc_lo
	v_add_co_u32 v6, s0, v6, s7
	s_delay_alu instid0(VALU_DEP_1) | instskip(NEXT) | instid1(VALU_DEP_3)
	v_add_co_ci_u32_e64 v7, s0, 0, v7, s0
	v_cmp_le_i64_e32 vcc_lo, s[36:37], v[4:5]
	s_and_not1_b32 s0, s13, exec_lo
	s_and_not1_b32 s12, s12, exec_lo
	s_and_b32 s13, vcc_lo, exec_lo
	s_delay_alu instid0(SALU_CYCLE_1)
	s_or_b32 s13, s0, s13
	s_waitcnt vmcnt(0) lgkmcnt(0)
	ds_store_b32 v8, v9
	v_add_nc_u32_e32 v8, s7, v8
	s_branch .LBB5_12
.LBB5_15:                               ;   in Loop: Header=BB5_10 Depth=1
	s_set_inst_prefetch_distance 0x2
	s_or_b32 exec_lo, exec_lo, s10
	s_mov_b32 s10, -1
	s_or_not1_b32 s0, s11, exec_lo
.LBB5_16:                               ;   in Loop: Header=BB5_10 Depth=1
	s_or_b32 exec_lo, exec_lo, s9
	s_delay_alu instid0(SALU_CYCLE_1)
	s_and_not1_b32 s8, s8, exec_lo
	s_and_b32 s9, s10, exec_lo
	s_mov_b32 s10, -1
	s_or_b32 s8, s8, s9
	s_and_saveexec_b32 s9, s0
	s_cbranch_execz .LBB5_9
; %bb.17:                               ;   in Loop: Header=BB5_10 Depth=1
	v_add_co_u32 v2, vcc_lo, v2, s28
	v_add_co_ci_u32_e32 v3, vcc_lo, 0, v3, vcc_lo
	v_add_co_u32 v0, s0, v0, s6
	s_delay_alu instid0(VALU_DEP_1) | instskip(NEXT) | instid1(VALU_DEP_3)
	v_add_co_ci_u32_e64 v1, s0, s5, v1, s0
	v_cmp_le_i64_e32 vcc_lo, s[36:37], v[2:3]
	s_and_not1_b32 s8, s8, exec_lo
	s_or_not1_b32 s10, vcc_lo, exec_lo
	s_branch .LBB5_9
.LBB5_18:
	s_cbranch_execnz .LBB5_45
	s_branch .LBB5_46
.LBB5_19:
	s_and_b32 vcc_lo, exec_lo, s0
	s_mov_b32 s38, 0
	s_cbranch_vccz .LBB5_37
; %bb.20:
	s_mov_b32 s29, -1
	s_and_saveexec_b32 s1, s21
	s_cbranch_execz .LBB5_50
; %bb.21:
	v_mad_u64_u32 v[0:1], null, s42, v42, 0
	s_lshl_b64 s[4:5], s[40:41], 2
	v_mov_b32_e32 v45, 0
	s_lshl_b64 s[2:3], s[36:37], 1
	s_mul_i32 s0, s43, s28
	s_mul_hi_u32 s7, s42, s28
	v_sub_nc_u32_e32 v12, v42, v44
	s_delay_alu instid0(VALU_DEP_3) | instskip(SKIP_1) | instid1(VALU_DEP_1)
	v_mad_u64_u32 v[2:3], null, s43, v42, v[1:2]
	v_sub_co_u32 v3, s2, s2, v44
	v_sub_co_ci_u32_e64 v4, null, s3, 0, s2
	s_mul_i32 s6, s42, s28
	s_add_i32 s7, s7, s0
	s_delay_alu instid0(VALU_DEP_3) | instskip(SKIP_2) | instid1(VALU_DEP_1)
	v_dual_mov_b32 v1, v2 :: v_dual_lshlrev_b32 v2, 2, v44
	s_lshl_b64 s[2:3], s[6:7], 2
	s_lshl_b32 s6, s34, 2
	v_lshlrev_b64 v[0:1], 2, v[0:1]
	s_delay_alu instid0(VALU_DEP_1) | instskip(NEXT) | instid1(VALU_DEP_2)
	v_add_co_u32 v0, vcc_lo, v0, s4
	v_add_co_ci_u32_e32 v1, vcc_lo, s5, v1, vcc_lo
	s_mov_b32 s4, 0
	s_delay_alu instid0(VALU_DEP_2) | instskip(NEXT) | instid1(VALU_DEP_2)
	v_add_co_u32 v2, vcc_lo, v0, v2
	v_add_co_ci_u32_e32 v5, vcc_lo, 0, v1, vcc_lo
	v_add_co_u32 v0, vcc_lo, v3, 1
	v_add_co_ci_u32_e32 v1, vcc_lo, 0, v4, vcc_lo
	s_delay_alu instid0(VALU_DEP_4) | instskip(NEXT) | instid1(VALU_DEP_4)
	v_add_co_u32 v2, vcc_lo, v46, v2
	v_add_co_ci_u32_e32 v3, vcc_lo, v47, v5, vcc_lo
	v_dual_mov_b32 v4, v42 :: v_dual_mov_b32 v5, v43
                                        ; implicit-def: $sgpr5
	s_branch .LBB5_23
.LBB5_22:                               ;   in Loop: Header=BB5_23 Depth=1
	s_or_b32 exec_lo, exec_lo, s7
	s_xor_b32 s7, s8, -1
	s_and_b32 s0, exec_lo, s0
	s_delay_alu instid0(SALU_CYCLE_1) | instskip(SKIP_2) | instid1(SALU_CYCLE_1)
	s_or_b32 s4, s0, s4
	s_and_not1_b32 s0, s5, exec_lo
	s_and_b32 s5, s7, exec_lo
	s_or_b32 s5, s0, s5
	s_and_not1_b32 exec_lo, exec_lo, s4
	s_cbranch_execz .LBB5_49
.LBB5_23:                               ; =>This Loop Header: Depth=1
                                        ;     Child Loop BB5_26 Depth 2
	s_mov_b32 s9, -1
	s_mov_b32 s7, exec_lo
                                        ; implicit-def: $sgpr8
	s_delay_alu instid0(VALU_DEP_1)
	v_cmpx_ge_u64_e64 v[4:5], v[44:45]
	s_cbranch_execz .LBB5_29
; %bb.24:                               ;   in Loop: Header=BB5_23 Depth=1
	v_dual_mov_b32 v7, v3 :: v_dual_mov_b32 v6, v2
	v_mov_b32_e32 v13, v12
	v_dual_mov_b32 v9, v1 :: v_dual_mov_b32 v8, v0
	v_dual_mov_b32 v10, v44 :: v_dual_mov_b32 v11, v45
	s_mov_b32 s8, 0
                                        ; implicit-def: $sgpr9
                                        ; implicit-def: $sgpr11
                                        ; implicit-def: $sgpr10
	s_branch .LBB5_26
.LBB5_25:                               ;   in Loop: Header=BB5_26 Depth=2
	s_or_b32 exec_lo, exec_lo, s12
	s_xor_b32 s0, s10, -1
	s_and_b32 s12, exec_lo, s11
	s_delay_alu instid0(SALU_CYCLE_1) | instskip(SKIP_2) | instid1(SALU_CYCLE_1)
	s_or_b32 s8, s12, s8
	s_and_not1_b32 s9, s9, exec_lo
	s_and_b32 s0, s0, exec_lo
	s_or_b32 s9, s9, s0
	s_and_not1_b32 exec_lo, exec_lo, s8
	s_cbranch_execz .LBB5_28
.LBB5_26:                               ;   Parent Loop BB5_23 Depth=1
                                        ; =>  This Inner Loop Header: Depth=2
	s_or_b32 s10, s10, exec_lo
	s_or_b32 s11, s11, exec_lo
	s_mov_b32 s12, exec_lo
	v_cmpx_gt_i64_e64 s[36:37], v[10:11]
	s_cbranch_execz .LBB5_25
; %bb.27:                               ;   in Loop: Header=BB5_26 Depth=2
	flat_load_b32 v16, v[6:7]
	v_mul_lo_u32 v17, v9, v10
	v_mul_lo_u32 v18, v8, v11
	v_mad_u64_u32 v[14:15], null, v8, v10, 0
	v_add_co_u32 v10, vcc_lo, v10, s34
	v_add_co_ci_u32_e32 v11, vcc_lo, 0, v11, vcc_lo
	v_sub_co_u32 v8, vcc_lo, v8, s34
	s_delay_alu instid0(VALU_DEP_4) | instskip(SKIP_1) | instid1(VALU_DEP_4)
	v_add3_u32 v15, v15, v18, v17
	v_subrev_co_ci_u32_e32 v9, vcc_lo, 0, v9, vcc_lo
	v_cmp_gt_u64_e32 vcc_lo, v[10:11], v[4:5]
	v_add_co_u32 v6, s0, v6, s6
	s_delay_alu instid0(VALU_DEP_4) | instskip(SKIP_3) | instid1(VALU_DEP_2)
	v_lshrrev_b32_e32 v15, 31, v15
	v_add_co_ci_u32_e64 v7, s0, 0, v7, s0
	s_and_not1_b32 s0, s11, exec_lo
	s_and_b32 s11, vcc_lo, exec_lo
	v_add_nc_u32_e32 v14, v14, v15
	s_and_not1_b32 s10, s10, exec_lo
	s_or_b32 s11, s0, s11
	s_delay_alu instid0(VALU_DEP_1) | instskip(NEXT) | instid1(VALU_DEP_1)
	v_lshrrev_b32_e32 v14, 1, v14
	v_add_nc_u32_e32 v14, v13, v14
	v_subrev_nc_u32_e32 v13, s34, v13
	s_delay_alu instid0(VALU_DEP_2)
	v_lshl_add_u32 v14, v14, 2, 0
	s_waitcnt vmcnt(0) lgkmcnt(0)
	ds_store_b32 v14, v16
	s_branch .LBB5_25
.LBB5_28:                               ;   in Loop: Header=BB5_23 Depth=1
	s_or_b32 exec_lo, exec_lo, s8
	s_mov_b32 s8, -1
	s_or_not1_b32 s9, s9, exec_lo
.LBB5_29:                               ;   in Loop: Header=BB5_23 Depth=1
	s_or_b32 exec_lo, exec_lo, s7
	s_mov_b32 s0, -1
	s_and_saveexec_b32 s7, s9
	s_cbranch_execz .LBB5_22
; %bb.30:                               ;   in Loop: Header=BB5_23 Depth=1
	v_add_co_u32 v4, vcc_lo, v4, s28
	v_add_co_ci_u32_e32 v5, vcc_lo, 0, v5, vcc_lo
	v_add_co_u32 v2, s0, v2, s2
	v_add_nc_u32_e32 v12, s28, v12
	s_delay_alu instid0(VALU_DEP_3)
	v_cmp_le_i64_e32 vcc_lo, s[36:37], v[4:5]
	v_add_co_ci_u32_e64 v3, s0, s3, v3, s0
	s_and_not1_b32 s8, s8, exec_lo
	s_or_not1_b32 s0, vcc_lo, exec_lo
	s_branch .LBB5_22
.LBB5_31:
	s_cbranch_execnz .LBB5_43
	s_branch .LBB5_44
.LBB5_32:
	s_cbranch_execnz .LBB5_41
	s_branch .LBB5_42
.LBB5_33:
	s_or_b32 exec_lo, exec_lo, s1
	s_mov_b32 s0, -1
	s_mov_b32 s1, s35
	s_and_saveexec_b32 s2, s4
	s_delay_alu instid0(SALU_CYCLE_1)
	s_xor_b32 s29, exec_lo, s2
	s_cbranch_execz .LBB5_35
; %bb.34:
	s_add_u32 s8, s22, 56
	s_addc_u32 s9, s23, 0
	s_getpc_b64 s[0:1]
	s_add_u32 s0, s0, .str.8@rel32@lo+4
	s_addc_u32 s1, s1, .str.8@rel32@hi+12
	s_getpc_b64 s[2:3]
	s_add_u32 s2, s2, __PRETTY_FUNCTION__._ZN9rocsolver6v33100L9idx_lowerIlEET_S2_S2_S2_@rel32@lo+4
	s_addc_u32 s3, s3, __PRETTY_FUNCTION__._ZN9rocsolver6v33100L9idx_lowerIlEET_S2_S2_S2_@rel32@hi+12
	v_dual_mov_b32 v0, s0 :: v_dual_mov_b32 v1, s1
	v_dual_mov_b32 v2, 0x51 :: v_dual_mov_b32 v3, s2
	v_mov_b32_e32 v4, s3
	s_getpc_b64 s[4:5]
	s_add_u32 s4, s4, __assert_fail@rel32@lo+4
	s_addc_u32 s5, s5, __assert_fail@rel32@hi+12
	s_delay_alu instid0(SALU_CYCLE_1)
	s_swappc_b64 s[30:31], s[4:5]
	s_or_b32 s1, s35, exec_lo
	s_xor_b32 s0, exec_lo, -1
.LBB5_35:
	s_or_b32 exec_lo, exec_lo, s29
	s_delay_alu instid0(SALU_CYCLE_1)
	s_and_not1_b32 s2, s35, exec_lo
	s_and_b32 s1, s1, exec_lo
	s_or_not1_b32 s29, s0, exec_lo
	s_or_b32 s35, s2, s1
.LBB5_36:
	s_or_b32 exec_lo, exec_lo, s38
	s_mov_b32 s38, 0
.LBB5_37:
	s_and_saveexec_b32 s39, s29
	s_cbranch_execnz .LBB5_51
.LBB5_38:
	s_or_b32 exec_lo, exec_lo, s39
	s_and_saveexec_b32 s0, s38
	s_delay_alu instid0(SALU_CYCLE_1)
	s_xor_b32 s21, exec_lo, s0
	s_cbranch_execz .LBB5_40
.LBB5_39:
	s_add_u32 s8, s22, 56
	s_addc_u32 s9, s23, 0
	s_getpc_b64 s[0:1]
	s_add_u32 s0, s0, .str.7@rel32@lo+4
	s_addc_u32 s1, s1, .str.7@rel32@hi+12
	s_getpc_b64 s[2:3]
	s_add_u32 s2, s2, __PRETTY_FUNCTION__._ZN9rocsolver6v33100L9idx_lowerIlEET_S2_S2_S2_@rel32@lo+4
	s_addc_u32 s3, s3, __PRETTY_FUNCTION__._ZN9rocsolver6v33100L9idx_lowerIlEET_S2_S2_S2_@rel32@hi+12
	v_dual_mov_b32 v0, s0 :: v_dual_mov_b32 v1, s1
	v_dual_mov_b32 v2, 0x50 :: v_dual_mov_b32 v3, s2
	v_mov_b32_e32 v4, s3
	s_getpc_b64 s[4:5]
	s_add_u32 s4, s4, __assert_fail@rel32@lo+4
	s_addc_u32 s5, s5, __assert_fail@rel32@hi+12
	s_delay_alu instid0(SALU_CYCLE_1)
	s_swappc_b64 s[30:31], s[4:5]
	s_or_b32 s35, s35, exec_lo
.LBB5_40:
	s_or_b32 exec_lo, exec_lo, s21
	s_branch .LBB5_42
.LBB5_41:
	s_add_u32 s8, s22, 56
	s_addc_u32 s9, s23, 0
	s_getpc_b64 s[0:1]
	s_add_u32 s0, s0, .str.4@rel32@lo+4
	s_addc_u32 s1, s1, .str.4@rel32@hi+12
	s_getpc_b64 s[2:3]
	s_add_u32 s2, s2, __PRETTY_FUNCTION__._ZN9rocsolver6v33100L18potf2_kernel_smallIfllPKPfEEvbT0_T2_lS5_lPT1_@rel32@lo+4
	s_addc_u32 s3, s3, __PRETTY_FUNCTION__._ZN9rocsolver6v33100L18potf2_kernel_smallIfllPKPfEEvbT0_T2_lS5_lPT1_@rel32@hi+12
	v_dual_mov_b32 v0, s0 :: v_dual_mov_b32 v1, s1
	v_dual_mov_b32 v2, 0x131 :: v_dual_mov_b32 v3, s2
	v_mov_b32_e32 v4, s3
	s_getpc_b64 s[4:5]
	s_add_u32 s4, s4, __assert_fail@rel32@lo+4
	s_addc_u32 s5, s5, __assert_fail@rel32@hi+12
	s_delay_alu instid0(SALU_CYCLE_1)
	s_swappc_b64 s[30:31], s[4:5]
	s_or_b32 s35, s35, exec_lo
.LBB5_42:
	s_branch .LBB5_44
.LBB5_43:
	s_add_u32 s8, s22, 56
	s_addc_u32 s9, s23, 0
	s_getpc_b64 s[0:1]
	s_add_u32 s0, s0, .str.3@rel32@lo+4
	s_addc_u32 s1, s1, .str.3@rel32@hi+12
	s_getpc_b64 s[2:3]
	s_add_u32 s2, s2, __PRETTY_FUNCTION__._ZN9rocsolver6v33100L18potf2_kernel_smallIfllPKPfEEvbT0_T2_lS5_lPT1_@rel32@lo+4
	s_addc_u32 s3, s3, __PRETTY_FUNCTION__._ZN9rocsolver6v33100L18potf2_kernel_smallIfllPKPfEEvbT0_T2_lS5_lPT1_@rel32@hi+12
	v_dual_mov_b32 v0, s0 :: v_dual_mov_b32 v1, s1
	v_dual_mov_b32 v2, 0x12c :: v_dual_mov_b32 v3, s2
	v_mov_b32_e32 v4, s3
	s_getpc_b64 s[4:5]
	s_add_u32 s4, s4, __assert_fail@rel32@lo+4
	s_addc_u32 s5, s5, __assert_fail@rel32@hi+12
	s_delay_alu instid0(SALU_CYCLE_1)
	s_swappc_b64 s[30:31], s[4:5]
	s_or_b32 s35, s35, exec_lo
.LBB5_44:
	s_branch .LBB5_46
.LBB5_45:
	s_add_u32 s8, s22, 56
	s_addc_u32 s9, s23, 0
	s_getpc_b64 s[0:1]
	s_add_u32 s0, s0, .str.2@rel32@lo+4
	s_addc_u32 s1, s1, .str.2@rel32@hi+12
	s_getpc_b64 s[2:3]
	s_add_u32 s2, s2, __PRETTY_FUNCTION__._ZN9rocsolver6v33100L18potf2_kernel_smallIfllPKPfEEvbT0_T2_lS5_lPT1_@rel32@lo+4
	s_addc_u32 s3, s3, __PRETTY_FUNCTION__._ZN9rocsolver6v33100L18potf2_kernel_smallIfllPKPfEEvbT0_T2_lS5_lPT1_@rel32@hi+12
	v_dual_mov_b32 v0, s0 :: v_dual_mov_b32 v1, s1
	v_dual_mov_b32 v2, 0x12b :: v_dual_mov_b32 v3, s2
	v_mov_b32_e32 v4, s3
	s_getpc_b64 s[4:5]
	s_add_u32 s4, s4, __assert_fail@rel32@lo+4
	s_addc_u32 s5, s5, __assert_fail@rel32@hi+12
	s_delay_alu instid0(SALU_CYCLE_1)
	s_swappc_b64 s[30:31], s[4:5]
	s_or_b32 s35, s35, exec_lo
.LBB5_46:
	s_delay_alu instid0(SALU_CYCLE_1)
	s_and_saveexec_b32 s0, s35
; %bb.47:
	; divergent unreachable
; %bb.48:
	s_endpgm
.LBB5_49:
	s_or_b32 exec_lo, exec_lo, s4
	s_delay_alu instid0(SALU_CYCLE_1)
	s_mov_b32 s38, exec_lo
	s_or_not1_b32 s29, s5, exec_lo
.LBB5_50:
	s_or_b32 exec_lo, exec_lo, s1
	s_and_saveexec_b32 s39, s29
	s_cbranch_execz .LBB5_38
.LBB5_51:
	v_cmp_gt_i64_e64 s0, s[36:37], 0
	s_mov_b64 s[8:9], 0
	s_waitcnt lgkmcnt(0)
	s_waitcnt_vscnt null, 0x0
	s_barrier
	buffer_gl0_inv
	s_and_b32 vcc_lo, exec_lo, s0
	s_cbranch_vccz .LBB5_91
; %bb.52:
	v_bfe_u32 v0, v41, 20, 10
	s_mul_i32 s12, s28, s34
	v_mul_u32_u24_e32 v1, s34, v42
	s_add_u32 s2, s24, s26
	v_mov_b32_e32 v7, 0
	v_mul_lo_u32 v0, s12, v0
	v_sub_nc_u32_e32 v8, v44, v42
	s_addc_u32 s3, s25, s27
	s_lshl_b64 s[4:5], s[36:37], 1
	s_mov_b32 s13, 0
	s_or_b32 s4, s4, 1
	s_lshl_b32 s15, s12, 2
	s_lshl_b32 s16, s34, 2
	v_add3_u32 v6, v1, v44, v0
	s_mov_b64 s[6:7], 0
                                        ; implicit-def: $sgpr17
                                        ; implicit-def: $sgpr14
	s_delay_alu instid0(VALU_DEP_1)
	v_cmp_eq_u32_e64 s0, 0, v6
	s_branch .LBB5_55
.LBB5_53:                               ;   in Loop: Header=BB5_55 Depth=1
	s_and_not1_b32 s19, s19, exec_lo
	s_and_not1_b32 s20, s20, exec_lo
	s_or_not1_b32 s10, s10, exec_lo
.LBB5_54:                               ;   in Loop: Header=BB5_55 Depth=1
	s_or_b32 exec_lo, exec_lo, s1
	s_xor_b32 s1, s19, -1
	s_xor_b32 s11, s20, -1
	s_and_b32 s10, exec_lo, s10
	s_delay_alu instid0(SALU_CYCLE_1)
	s_or_b32 s13, s10, s13
	s_and_not1_b32 s10, s14, exec_lo
	s_and_b32 s1, s1, exec_lo
	s_and_not1_b32 s17, s17, exec_lo
	s_and_b32 s11, s11, exec_lo
	s_or_b32 s14, s10, s1
	s_or_b32 s17, s17, s11
	s_and_not1_b32 exec_lo, exec_lo, s13
	s_cbranch_execz .LBB5_88
.LBB5_55:                               ; =>This Loop Header: Depth=1
                                        ;     Child Loop BB5_66 Depth 2
                                        ;     Child Loop BB5_75 Depth 2
                                        ;       Child Loop BB5_79 Depth 3
	s_add_u32 s1, s8, s4
	s_addc_u32 s9, s9, s5
	s_mul_i32 s10, s1, s7
	s_mul_hi_u32 s11, s1, s6
	s_mul_i32 s9, s9, s6
	s_add_i32 s10, s11, s10
	s_mul_i32 s1, s1, s6
	s_add_i32 s9, s10, s9
	s_mov_b32 s18, 0
	s_lshr_b32 s10, s9, 31
	s_delay_alu instid0(SALU_CYCLE_1) | instskip(SKIP_1) | instid1(SALU_CYCLE_1)
	s_add_u32 s10, s1, s10
	s_addc_u32 s11, s9, 0
	s_ashr_i64 s[10:11], s[10:11], 1
	s_delay_alu instid0(SALU_CYCLE_1) | instskip(NEXT) | instid1(SALU_CYCLE_1)
	s_lshl_b32 s1, s10, 2
	s_add_i32 s9, s1, 0
	s_mov_b32 s1, -1
	v_mov_b32_e32 v0, s9
	ds_load_b32 v0, v0
	s_waitcnt lgkmcnt(0)
	v_cmp_class_f32_e64 s11, v0, 0x180
	s_delay_alu instid0(VALU_DEP_1)
	s_and_b32 vcc_lo, exec_lo, s11
	s_cbranch_vccnz .LBB5_60
; %bb.56:                               ;   in Loop: Header=BB5_55 Depth=1
	s_and_saveexec_b32 s1, s0
	s_cbranch_execz .LBB5_59
; %bb.57:                               ;   in Loop: Header=BB5_55 Depth=1
	global_load_b64 v[1:2], v7, s[2:3]
	s_waitcnt vmcnt(0)
	v_cmp_ne_u64_e32 vcc_lo, 0, v[1:2]
	s_cbranch_vccnz .LBB5_59
; %bb.58:                               ;   in Loop: Header=BB5_55 Depth=1
	s_add_u32 s18, s6, 1
	s_addc_u32 s19, s7, 0
	s_delay_alu instid0(SALU_CYCLE_1)
	v_dual_mov_b32 v1, s18 :: v_dual_mov_b32 v2, s19
	global_store_b64 v7, v[1:2], s[2:3]
.LBB5_59:                               ;   in Loop: Header=BB5_55 Depth=1
	s_or_b32 exec_lo, exec_lo, s1
	s_mov_b32 s1, 0
	s_mov_b32 s18, -1
.LBB5_60:                               ;   in Loop: Header=BB5_55 Depth=1
	s_and_not1_b32 vcc_lo, exec_lo, s1
	s_cbranch_vccnz .LBB5_68
; %bb.61:                               ;   in Loop: Header=BB5_55 Depth=1
	v_mul_f32_e32 v1, 0x4f800000, v0
	v_cmp_gt_f32_e32 vcc_lo, 0xf800000, v0
	s_delay_alu instid0(VALU_DEP_2) | instskip(NEXT) | instid1(VALU_DEP_1)
	v_cndmask_b32_e32 v0, v0, v1, vcc_lo
	v_sqrt_f32_e32 v1, v0
	s_waitcnt_depctr 0xfff
	v_add_nc_u32_e32 v2, -1, v1
	v_add_nc_u32_e32 v3, 1, v1
	s_delay_alu instid0(VALU_DEP_2) | instskip(NEXT) | instid1(VALU_DEP_2)
	v_fma_f32 v4, -v2, v1, v0
	v_fma_f32 v5, -v3, v1, v0
	s_delay_alu instid0(VALU_DEP_2) | instskip(NEXT) | instid1(VALU_DEP_1)
	v_cmp_ge_f32_e64 s1, 0, v4
	v_cndmask_b32_e64 v1, v1, v2, s1
	s_delay_alu instid0(VALU_DEP_3) | instskip(NEXT) | instid1(VALU_DEP_1)
	v_cmp_lt_f32_e64 s1, 0, v5
	v_cndmask_b32_e64 v1, v1, v3, s1
	s_delay_alu instid0(VALU_DEP_1) | instskip(NEXT) | instid1(VALU_DEP_1)
	v_mul_f32_e32 v2, 0x37800000, v1
	v_cndmask_b32_e32 v1, v1, v2, vcc_lo
	v_cmp_class_f32_e64 vcc_lo, v0, 0x260
	s_delay_alu instid0(VALU_DEP_2)
	v_cndmask_b32_e32 v2, v1, v0, vcc_lo
	s_and_saveexec_b32 s1, s0
	s_cbranch_execz .LBB5_63
; %bb.62:                               ;   in Loop: Header=BB5_55 Depth=1
	v_mov_b32_e32 v0, s9
	ds_store_b32 v0, v2
.LBB5_63:                               ;   in Loop: Header=BB5_55 Depth=1
	s_or_b32 exec_lo, exec_lo, s1
	s_add_u32 s1, s6, 1
	s_addc_u32 s25, s7, 0
	v_add_co_u32 v0, s9, s1, v6
	s_delay_alu instid0(VALU_DEP_1)
	v_add_co_ci_u32_e64 v1, null, s25, 0, s9
	s_mov_b32 s24, -1
	s_mov_b32 s9, exec_lo
	s_waitcnt lgkmcnt(0)
	s_waitcnt_vscnt null, 0x0
	s_barrier
	buffer_gl0_inv
                                        ; implicit-def: $sgpr19
                                        ; implicit-def: $sgpr20
	v_cmpx_gt_i64_e64 s[36:37], v[0:1]
	s_cbranch_execz .LBB5_70
; %bb.64:                               ;   in Loop: Header=BB5_55 Depth=1
	v_add_lshl_u32 v3, v6, s10, 2
	s_mov_b32 s19, 0
                                        ; implicit-def: $sgpr24
                                        ; implicit-def: $sgpr26
                                        ; implicit-def: $sgpr20
	s_delay_alu instid0(VALU_DEP_1)
	v_add3_u32 v3, 0, 4, v3
	s_set_inst_prefetch_distance 0x1
	s_branch .LBB5_66
	.p2align	6
.LBB5_65:                               ;   in Loop: Header=BB5_66 Depth=2
	s_or_b32 exec_lo, exec_lo, s27
	s_xor_b32 s27, s20, -1
	s_and_b32 s29, exec_lo, s26
	s_delay_alu instid0(SALU_CYCLE_1) | instskip(SKIP_2) | instid1(SALU_CYCLE_1)
	s_or_b32 s19, s29, s19
	s_and_not1_b32 s24, s24, exec_lo
	s_and_b32 s27, s27, exec_lo
	s_or_b32 s24, s24, s27
	s_and_not1_b32 exec_lo, exec_lo, s19
	s_cbranch_execz .LBB5_69
.LBB5_66:                               ;   Parent Loop BB5_55 Depth=1
                                        ; =>  This Inner Loop Header: Depth=2
	s_or_b32 s20, s20, exec_lo
	s_or_b32 s26, s26, exec_lo
	s_mov_b32 s27, exec_lo
	v_cmpx_le_u64_e64 s[6:7], v[0:1]
	s_cbranch_execz .LBB5_65
; %bb.67:                               ;   in Loop: Header=BB5_66 Depth=2
	ds_load_b32 v4, v3
	s_and_not1_b32 s26, s26, exec_lo
	s_and_not1_b32 s20, s20, exec_lo
	s_waitcnt lgkmcnt(0)
	v_div_scale_f32 v5, null, v2, v2, v4
	v_div_scale_f32 v11, vcc_lo, v4, v2, v4
	s_delay_alu instid0(VALU_DEP_2) | instskip(SKIP_2) | instid1(VALU_DEP_1)
	v_rcp_f32_e32 v9, v5
	s_waitcnt_depctr 0xfff
	v_fma_f32 v10, -v5, v9, 1.0
	v_fmac_f32_e32 v9, v10, v9
	s_delay_alu instid0(VALU_DEP_1) | instskip(NEXT) | instid1(VALU_DEP_1)
	v_mul_f32_e32 v10, v11, v9
	v_fma_f32 v12, -v5, v10, v11
	s_delay_alu instid0(VALU_DEP_1) | instskip(NEXT) | instid1(VALU_DEP_1)
	v_fmac_f32_e32 v10, v12, v9
	v_fma_f32 v5, -v5, v10, v11
	s_delay_alu instid0(VALU_DEP_1) | instskip(SKIP_2) | instid1(VALU_DEP_3)
	v_div_fmas_f32 v5, v5, v9, v10
	v_add_co_u32 v0, vcc_lo, v0, s12
	v_add_co_ci_u32_e32 v1, vcc_lo, 0, v1, vcc_lo
	v_div_fixup_f32 v4, v5, v2, v4
	s_delay_alu instid0(VALU_DEP_2) | instskip(SKIP_3) | instid1(SALU_CYCLE_1)
	v_cmp_le_i64_e32 vcc_lo, s[36:37], v[0:1]
	ds_store_b32 v3, v4
	v_add_nc_u32_e32 v3, s15, v3
	s_and_b32 s29, vcc_lo, exec_lo
	s_or_b32 s26, s26, s29
	s_branch .LBB5_65
.LBB5_68:                               ;   in Loop: Header=BB5_55 Depth=1
                                        ; implicit-def: $sgpr20
                                        ; implicit-def: $sgpr19
	s_mov_b32 s10, -1
                                        ; implicit-def: $sgpr8_sgpr9
	s_and_saveexec_b32 s1, s18
	s_delay_alu instid0(SALU_CYCLE_1)
	s_xor_b32 s1, exec_lo, s1
	s_cbranch_execz .LBB5_54
	s_branch .LBB5_86
.LBB5_69:                               ;   in Loop: Header=BB5_55 Depth=1
	s_set_inst_prefetch_distance 0x2
	s_or_b32 exec_lo, exec_lo, s19
	s_mov_b32 s20, -1
	s_mov_b32 s19, 0
	s_or_not1_b32 s24, s24, exec_lo
.LBB5_70:                               ;   in Loop: Header=BB5_55 Depth=1
	s_or_b32 exec_lo, exec_lo, s9
	s_and_saveexec_b32 s9, s24
	s_delay_alu instid0(SALU_CYCLE_1)
	s_xor_b32 s9, exec_lo, s9
	s_cbranch_execz .LBB5_85
; %bb.71:                               ;   in Loop: Header=BB5_55 Depth=1
	v_add_co_u32 v0, s24, s1, v42
	s_delay_alu instid0(VALU_DEP_1)
	v_add_co_ci_u32_e64 v1, null, s25, 0, s24
	s_mov_b32 s29, -1
	s_mov_b32 s24, exec_lo
	s_waitcnt lgkmcnt(0)
	s_barrier
	buffer_gl0_inv
                                        ; implicit-def: $sgpr27
                                        ; implicit-def: $sgpr26
	v_cmpx_gt_i64_e64 s[36:37], v[0:1]
	s_cbranch_execz .LBB5_82
; %bb.72:                               ;   in Loop: Header=BB5_55 Depth=1
	v_add_co_u32 v2, s1, s1, v44
	s_delay_alu instid0(VALU_DEP_1) | instskip(SKIP_3) | instid1(VALU_DEP_3)
	v_add_co_ci_u32_e64 v3, null, s25, 0, s1
	v_add_lshl_u32 v9, v44, s10, 2
	v_mov_b32_e32 v10, v8
	s_add_u32 s25, s10, s8
	v_cmp_gt_i64_e32 vcc_lo, s[36:37], v[2:3]
	s_mov_b32 s8, 0
                                        ; implicit-def: $sgpr10
                                        ; implicit-def: $sgpr27
                                        ; implicit-def: $sgpr26
	s_branch .LBB5_75
.LBB5_73:                               ;   in Loop: Header=BB5_75 Depth=2
	s_set_inst_prefetch_distance 0x2
	s_or_b32 exec_lo, exec_lo, s30
	v_add_co_u32 v0, s1, v0, s28
	s_delay_alu instid0(VALU_DEP_1) | instskip(SKIP_3) | instid1(VALU_DEP_2)
	v_add_co_ci_u32_e64 v1, s1, 0, v1, s1
	v_subrev_nc_u32_e32 v10, s28, v10
	s_and_not1_b32 s27, s27, exec_lo
	s_and_not1_b32 s26, s26, exec_lo
	v_cmp_le_i64_e64 s1, s[36:37], v[0:1]
	s_delay_alu instid0(VALU_DEP_1) | instskip(NEXT) | instid1(SALU_CYCLE_1)
	s_and_b32 s1, s1, exec_lo
	s_or_b32 s27, s27, s1
.LBB5_74:                               ;   in Loop: Header=BB5_75 Depth=2
	s_or_b32 exec_lo, exec_lo, s29
	s_xor_b32 s1, s26, -1
	s_and_b32 s29, exec_lo, s27
	s_delay_alu instid0(SALU_CYCLE_1) | instskip(SKIP_2) | instid1(SALU_CYCLE_1)
	s_or_b32 s8, s29, s8
	s_and_not1_b32 s10, s10, exec_lo
	s_and_b32 s1, s1, exec_lo
	s_or_b32 s10, s10, s1
	s_and_not1_b32 exec_lo, exec_lo, s8
	s_cbranch_execz .LBB5_81
.LBB5_75:                               ;   Parent Loop BB5_55 Depth=1
                                        ; =>  This Loop Header: Depth=2
                                        ;       Child Loop BB5_79 Depth 3
	s_or_b32 s26, s26, exec_lo
	s_or_b32 s27, s27, exec_lo
	s_mov_b32 s29, exec_lo
	v_cmpx_le_u64_e64 s[6:7], v[0:1]
	s_cbranch_execz .LBB5_74
; %bb.76:                               ;   in Loop: Header=BB5_75 Depth=2
	s_and_saveexec_b32 s30, vcc_lo
	s_cbranch_execz .LBB5_73
; %bb.77:                               ;   in Loop: Header=BB5_75 Depth=2
	s_waitcnt lgkmcnt(0)
	v_sub_co_u32 v11, s1, s4, v0
	s_delay_alu instid0(VALU_DEP_1) | instskip(SKIP_1) | instid1(VALU_DEP_2)
	v_sub_co_ci_u32_e64 v4, s1, s5, v1, s1
	s_mov_b32 s31, 0
	v_mul_lo_u32 v13, v11, v1
	s_mov_b32 s33, 0
	s_delay_alu instid0(VALU_DEP_2) | instskip(SKIP_2) | instid1(VALU_DEP_2)
	v_mul_lo_u32 v12, v4, v0
	v_mad_u64_u32 v[4:5], null, v11, v0, 0
	v_add_nc_u32_e32 v11, s25, v0
	v_add3_u32 v5, v5, v13, v12
	s_delay_alu instid0(VALU_DEP_1) | instskip(NEXT) | instid1(VALU_DEP_1)
	v_lshrrev_b32_e32 v5, 31, v5
	v_add_nc_u32_e32 v4, v4, v5
	s_delay_alu instid0(VALU_DEP_1) | instskip(NEXT) | instid1(VALU_DEP_1)
	v_lshrrev_b32_e32 v4, 1, v4
	v_add_lshl_u32 v12, v10, v4, 2
	v_dual_mov_b32 v5, v3 :: v_dual_mov_b32 v4, v2
	v_lshl_add_u32 v11, v11, 2, 0
	ds_load_b32 v11, v11
	s_set_inst_prefetch_distance 0x1
	s_branch .LBB5_79
	.p2align	6
.LBB5_78:                               ;   in Loop: Header=BB5_79 Depth=3
	s_or_b32 exec_lo, exec_lo, s45
	v_add_co_u32 v4, s1, v4, s34
	s_delay_alu instid0(VALU_DEP_1) | instskip(SKIP_1) | instid1(VALU_DEP_1)
	v_add_co_ci_u32_e64 v5, s1, 0, v5, s1
	s_add_i32 s33, s33, s16
	v_cmp_le_i64_e64 s1, s[36:37], v[4:5]
	s_delay_alu instid0(VALU_DEP_1) | instskip(NEXT) | instid1(SALU_CYCLE_1)
	s_or_b32 s31, s1, s31
	s_and_not1_b32 exec_lo, exec_lo, s31
	s_cbranch_execz .LBB5_73
.LBB5_79:                               ;   Parent Loop BB5_55 Depth=1
                                        ;     Parent Loop BB5_75 Depth=2
                                        ; =>    This Inner Loop Header: Depth=3
	s_mov_b32 s45, exec_lo
	v_cmpx_ge_u64_e64 v[4:5], v[0:1]
	s_cbranch_execz .LBB5_78
; %bb.80:                               ;   in Loop: Header=BB5_79 Depth=3
	v_add_nc_u32_e32 v13, s33, v9
	v_add_nc_u32_e32 v14, s33, v12
	ds_load_b32 v13, v13 offset:4
	ds_load_b32 v15, v14
	s_waitcnt lgkmcnt(0)
	v_fma_f32 v13, -v11, v13, v15
	ds_store_b32 v14, v13
	s_branch .LBB5_78
.LBB5_81:                               ;   in Loop: Header=BB5_55 Depth=1
	s_or_b32 exec_lo, exec_lo, s8
	s_mov_b32 s26, 0
	s_mov_b32 s27, -1
	s_or_not1_b32 s29, s10, exec_lo
.LBB5_82:                               ;   in Loop: Header=BB5_55 Depth=1
	s_or_b32 exec_lo, exec_lo, s24
	s_mov_b32 s1, s18
	s_and_saveexec_b32 s8, s29
	s_cbranch_execz .LBB5_84
; %bb.83:                               ;   in Loop: Header=BB5_55 Depth=1
	s_or_b32 s1, s18, exec_lo
	s_waitcnt lgkmcnt(0)
	s_barrier
	buffer_gl0_inv
                                        ; implicit-def: $sgpr27
                                        ; implicit-def: $sgpr26
.LBB5_84:                               ;   in Loop: Header=BB5_55 Depth=1
	s_or_b32 exec_lo, exec_lo, s8
	s_delay_alu instid0(SALU_CYCLE_1)
	s_and_not1_b32 s8, s19, exec_lo
	s_and_b32 s10, s27, exec_lo
	s_and_not1_b32 s18, s18, exec_lo
	s_or_b32 s19, s8, s10
	s_and_not1_b32 s8, s20, exec_lo
	s_and_b32 s10, s26, exec_lo
	s_and_b32 s1, s1, exec_lo
	s_or_b32 s20, s8, s10
	s_or_b32 s18, s18, s1
.LBB5_85:                               ;   in Loop: Header=BB5_55 Depth=1
	s_or_b32 exec_lo, exec_lo, s9
	s_mov_b32 s10, -1
                                        ; implicit-def: $sgpr8_sgpr9
	s_and_saveexec_b32 s1, s18
	s_delay_alu instid0(SALU_CYCLE_1)
	s_xor_b32 s1, exec_lo, s1
	s_cbranch_execz .LBB5_54
.LBB5_86:                               ;   in Loop: Header=BB5_55 Depth=1
	s_and_b32 vcc_lo, exec_lo, s11
                                        ; implicit-def: $sgpr8_sgpr9
	s_cbranch_vccz .LBB5_53
; %bb.87:                               ;   in Loop: Header=BB5_55 Depth=1
	s_add_u32 s24, s6, 1
	s_addc_u32 s25, s7, 0
	s_not_b64 s[8:9], s[6:7]
	s_cmp_eq_u64 s[24:25], s[36:37]
	s_mov_b64 s[6:7], s[24:25]
	s_cselect_b32 s10, -1, 0
	s_branch .LBB5_53
.LBB5_88:
	s_or_b32 exec_lo, exec_lo, s13
	s_mov_b32 s0, 0
	s_mov_b32 s24, -1
	s_mov_b32 s25, 0
	s_and_saveexec_b32 s1, s17
	s_delay_alu instid0(SALU_CYCLE_1)
	s_xor_b32 s1, exec_lo, s1
; %bb.89:
	s_mov_b32 s25, exec_lo
	s_xor_b32 s24, exec_lo, -1
	s_and_b32 s0, s14, exec_lo
; %bb.90:
	s_or_b32 exec_lo, exec_lo, s1
	s_mov_b32 s27, s35
	s_and_saveexec_b32 s26, s0
	s_cbranch_execnz .LBB5_92
	s_branch .LBB5_127
.LBB5_91:
	s_mov_b32 s0, -1
	s_mov_b32 s25, 0
	s_mov_b32 s24, 0
	;; [unrolled: 1-line block ×3, first 2 shown]
	s_and_saveexec_b32 s26, s0
	s_cbranch_execz .LBB5_127
.LBB5_92:
	s_mov_b32 s1, -1
	s_mov_b32 s27, 0
	s_and_b32 vcc_lo, exec_lo, s44
	s_mov_b32 s0, 0
	s_mov_b32 s29, s35
	s_waitcnt lgkmcnt(0)
	s_waitcnt_vscnt null, 0x0
	s_barrier
	buffer_gl0_inv
	s_cbranch_vccz .LBB5_104
; %bb.93:
	s_mov_b32 s0, -1
	s_mov_b32 s29, s35
	s_and_saveexec_b32 s44, s21
	s_cbranch_execz .LBB5_119
; %bb.94:
	v_mad_u64_u32 v[0:1], null, s42, v42, 0
	s_lshl_b64 s[4:5], s[40:41], 2
	s_lshl_b64 s[2:3], s[36:37], 1
	;; [unrolled: 1-line block ×3, first 2 shown]
	s_or_b32 s2, s2, 1
	s_add_u32 s0, s6, 4
	s_addc_u32 s6, s7, 0
	s_delay_alu instid0(VALU_DEP_1) | instskip(SKIP_3) | instid1(VALU_DEP_1)
	v_mad_u64_u32 v[2:3], null, s43, v42, v[1:2]
	s_mul_i32 s6, s6, s28
	s_mov_b32 s1, 0
	s_lshl_b32 s7, s34, 2
                                        ; implicit-def: $sgpr8
	v_mov_b32_e32 v1, v2
	v_add_lshl_u32 v2, v42, v44, 2
	s_delay_alu instid0(VALU_DEP_2) | instskip(NEXT) | instid1(VALU_DEP_1)
	v_lshlrev_b64 v[0:1], 2, v[0:1]
	v_add_co_u32 v0, vcc_lo, v0, s4
	s_delay_alu instid0(VALU_DEP_2) | instskip(SKIP_1) | instid1(VALU_DEP_2)
	v_add_co_ci_u32_e32 v1, vcc_lo, s5, v1, vcc_lo
	s_mul_hi_u32 s4, s0, s28
	v_add_co_u32 v0, vcc_lo, v0, v2
	s_delay_alu instid0(VALU_DEP_2) | instskip(SKIP_1) | instid1(VALU_DEP_3)
	v_add_co_ci_u32_e32 v1, vcc_lo, 0, v1, vcc_lo
	v_dual_mov_b32 v2, v42 :: v_dual_mov_b32 v3, v43
	v_add_co_u32 v0, vcc_lo, v46, v0
	s_delay_alu instid0(VALU_DEP_3)
	v_add_co_ci_u32_e32 v1, vcc_lo, v47, v1, vcc_lo
	s_add_i32 s5, s4, s6
	s_mul_i32 s6, s0, s28
                                        ; implicit-def: $sgpr4
	s_branch .LBB5_96
.LBB5_95:                               ;   in Loop: Header=BB5_96 Depth=1
	s_or_b32 exec_lo, exec_lo, s9
	s_delay_alu instid0(SALU_CYCLE_1) | instskip(NEXT) | instid1(SALU_CYCLE_1)
	s_and_b32 s0, exec_lo, s10
	s_or_b32 s1, s0, s1
	s_and_not1_b32 s0, s4, exec_lo
	s_and_b32 s4, s8, exec_lo
	s_delay_alu instid0(SALU_CYCLE_1)
	s_or_b32 s4, s0, s4
	s_and_not1_b32 exec_lo, exec_lo, s1
	s_cbranch_execz .LBB5_116
.LBB5_96:                               ; =>This Loop Header: Depth=1
                                        ;     Child Loop BB5_99 Depth 2
	v_add_co_u32 v4, vcc_lo, v2, v44
	v_add_co_ci_u32_e32 v5, vcc_lo, 0, v3, vcc_lo
	s_mov_b32 s0, -1
	s_mov_b32 s9, exec_lo
                                        ; implicit-def: $sgpr10
	s_delay_alu instid0(VALU_DEP_1)
	v_cmpx_gt_i64_e64 s[36:37], v[4:5]
	s_cbranch_execz .LBB5_102
; %bb.97:                               ;   in Loop: Header=BB5_96 Depth=1
	v_sub_co_u32 v8, vcc_lo, s2, v2
	v_sub_co_ci_u32_e32 v6, vcc_lo, s3, v3, vcc_lo
	s_mov_b32 s10, 0
	s_delay_alu instid0(VALU_DEP_2) | instskip(NEXT) | instid1(VALU_DEP_2)
	v_mul_lo_u32 v10, v8, v3
                                        ; implicit-def: $sgpr11
                                        ; implicit-def: $sgpr13
                                        ; implicit-def: $sgpr12
	v_mul_lo_u32 v9, v6, v2
	v_mad_u64_u32 v[6:7], null, v8, v2, 0
	s_delay_alu instid0(VALU_DEP_1) | instskip(NEXT) | instid1(VALU_DEP_1)
	v_add3_u32 v7, v7, v10, v9
	v_lshrrev_b32_e32 v7, 31, v7
	s_delay_alu instid0(VALU_DEP_1) | instskip(NEXT) | instid1(VALU_DEP_1)
	v_add_nc_u32_e32 v6, v6, v7
	v_lshrrev_b32_e32 v6, 1, v6
	s_delay_alu instid0(VALU_DEP_1) | instskip(NEXT) | instid1(VALU_DEP_1)
	v_add_nc_u32_e32 v6, v44, v6
	v_lshl_add_u32 v8, v6, 2, 0
	v_dual_mov_b32 v7, v1 :: v_dual_mov_b32 v6, v0
	s_set_inst_prefetch_distance 0x1
	s_branch .LBB5_99
	.p2align	6
.LBB5_98:                               ;   in Loop: Header=BB5_99 Depth=2
	s_or_b32 exec_lo, exec_lo, s14
	s_xor_b32 s0, s12, -1
	s_and_b32 s14, exec_lo, s13
	s_delay_alu instid0(SALU_CYCLE_1) | instskip(SKIP_2) | instid1(SALU_CYCLE_1)
	s_or_b32 s10, s14, s10
	s_and_not1_b32 s11, s11, exec_lo
	s_and_b32 s0, s0, exec_lo
	s_or_b32 s11, s11, s0
	s_and_not1_b32 exec_lo, exec_lo, s10
	s_cbranch_execz .LBB5_101
.LBB5_99:                               ;   Parent Loop BB5_96 Depth=1
                                        ; =>  This Inner Loop Header: Depth=2
	s_or_b32 s12, s12, exec_lo
	s_or_b32 s13, s13, exec_lo
	s_mov_b32 s14, exec_lo
	v_cmpx_ge_u64_e64 v[4:5], v[2:3]
	s_cbranch_execz .LBB5_98
; %bb.100:                              ;   in Loop: Header=BB5_99 Depth=2
	ds_load_b32 v9, v8
	v_add_co_u32 v4, vcc_lo, v4, s34
	v_add_co_ci_u32_e32 v5, vcc_lo, 0, v5, vcc_lo
	v_add_nc_u32_e32 v8, s7, v8
	s_and_not1_b32 s12, s12, exec_lo
	s_delay_alu instid0(VALU_DEP_2) | instskip(SKIP_3) | instid1(VALU_DEP_1)
	v_cmp_le_i64_e32 vcc_lo, s[36:37], v[4:5]
	s_waitcnt lgkmcnt(0)
	flat_store_b32 v[6:7], v9
	v_add_co_u32 v6, s0, v6, s7
	v_add_co_ci_u32_e64 v7, s0, 0, v7, s0
	s_and_not1_b32 s0, s13, exec_lo
	s_and_b32 s13, vcc_lo, exec_lo
	s_delay_alu instid0(SALU_CYCLE_1)
	s_or_b32 s13, s0, s13
	s_branch .LBB5_98
.LBB5_101:                              ;   in Loop: Header=BB5_96 Depth=1
	s_set_inst_prefetch_distance 0x2
	s_or_b32 exec_lo, exec_lo, s10
	s_mov_b32 s10, -1
	s_or_not1_b32 s0, s11, exec_lo
.LBB5_102:                              ;   in Loop: Header=BB5_96 Depth=1
	s_or_b32 exec_lo, exec_lo, s9
	s_delay_alu instid0(SALU_CYCLE_1)
	s_and_not1_b32 s8, s8, exec_lo
	s_and_b32 s9, s10, exec_lo
	s_mov_b32 s10, -1
	s_or_b32 s8, s8, s9
	s_and_saveexec_b32 s9, s0
	s_cbranch_execz .LBB5_95
; %bb.103:                              ;   in Loop: Header=BB5_96 Depth=1
	v_add_co_u32 v2, vcc_lo, v2, s28
	v_add_co_ci_u32_e32 v3, vcc_lo, 0, v3, vcc_lo
	v_add_co_u32 v0, s0, v0, s6
	s_delay_alu instid0(VALU_DEP_1) | instskip(NEXT) | instid1(VALU_DEP_3)
	v_add_co_ci_u32_e64 v1, s0, s5, v1, s0
	v_cmp_le_i64_e32 vcc_lo, s[36:37], v[2:3]
	s_and_not1_b32 s8, s8, exec_lo
	s_or_not1_b32 s10, vcc_lo, exec_lo
	s_branch .LBB5_95
.LBB5_104:
	s_and_b32 vcc_lo, exec_lo, s1
	s_cbranch_vccz .LBB5_120
; %bb.105:
	s_mov_b32 s0, -1
	s_mov_b32 s27, 0
	s_and_saveexec_b32 s1, s21
	s_cbranch_execz .LBB5_123
; %bb.106:
	v_mad_u64_u32 v[0:1], null, s42, v42, 0
	s_lshl_b64 s[4:5], s[40:41], 2
	v_mov_b32_e32 v45, 0
	s_lshl_b64 s[2:3], s[36:37], 1
	s_mul_i32 s0, s43, s28
	s_mul_hi_u32 s6, s42, s28
	v_sub_nc_u32_e32 v10, v42, v44
	s_delay_alu instid0(VALU_DEP_3) | instskip(SKIP_1) | instid1(VALU_DEP_1)
	v_mad_u64_u32 v[2:3], null, s43, v42, v[1:2]
	v_sub_co_u32 v3, s2, s2, v44
	v_sub_co_ci_u32_e64 v4, null, s3, 0, s2
	s_add_i32 s3, s6, s0
	s_mul_i32 s2, s42, s28
	s_delay_alu instid0(VALU_DEP_3) | instskip(SKIP_1) | instid1(VALU_DEP_1)
	v_dual_mov_b32 v1, v2 :: v_dual_lshlrev_b32 v2, 2, v44
	s_lshl_b64 s[2:3], s[2:3], 2
                                        ; implicit-def: $sgpr6
	v_lshlrev_b64 v[0:1], 2, v[0:1]
	s_delay_alu instid0(VALU_DEP_1) | instskip(NEXT) | instid1(VALU_DEP_2)
	v_add_co_u32 v0, vcc_lo, v0, s4
	v_add_co_ci_u32_e32 v1, vcc_lo, s5, v1, vcc_lo
	s_mov_b32 s4, 0
	s_delay_alu instid0(VALU_DEP_2) | instskip(NEXT) | instid1(VALU_DEP_2)
	v_add_co_u32 v2, vcc_lo, v0, v2
	v_add_co_ci_u32_e32 v5, vcc_lo, 0, v1, vcc_lo
	v_add_co_u32 v0, vcc_lo, v3, 1
	v_add_co_ci_u32_e32 v1, vcc_lo, 0, v4, vcc_lo
	s_delay_alu instid0(VALU_DEP_4) | instskip(NEXT) | instid1(VALU_DEP_4)
	v_add_co_u32 v2, vcc_lo, v46, v2
	v_add_co_ci_u32_e32 v3, vcc_lo, v47, v5, vcc_lo
	s_lshl_b32 s5, s34, 2
	s_branch .LBB5_108
.LBB5_107:                              ;   in Loop: Header=BB5_108 Depth=1
	s_or_b32 exec_lo, exec_lo, s7
	s_xor_b32 s7, s8, -1
	s_and_b32 s0, exec_lo, s0
	s_delay_alu instid0(SALU_CYCLE_1) | instskip(SKIP_2) | instid1(SALU_CYCLE_1)
	s_or_b32 s4, s0, s4
	s_and_not1_b32 s0, s6, exec_lo
	s_and_b32 s6, s7, exec_lo
	s_or_b32 s6, s0, s6
	s_and_not1_b32 exec_lo, exec_lo, s4
	s_cbranch_execz .LBB5_122
.LBB5_108:                              ; =>This Loop Header: Depth=1
                                        ;     Child Loop BB5_111 Depth 2
	s_mov_b32 s9, -1
	s_mov_b32 s7, exec_lo
                                        ; implicit-def: $sgpr8
	v_cmpx_ge_u64_e64 v[42:43], v[44:45]
	s_cbranch_execz .LBB5_114
; %bb.109:                              ;   in Loop: Header=BB5_108 Depth=1
	v_dual_mov_b32 v7, v1 :: v_dual_mov_b32 v8, v44
	v_dual_mov_b32 v5, v3 :: v_dual_mov_b32 v4, v2
	;; [unrolled: 1-line block ×3, first 2 shown]
	v_mov_b32_e32 v9, v45
	s_mov_b32 s8, 0
                                        ; implicit-def: $sgpr9
                                        ; implicit-def: $sgpr11
                                        ; implicit-def: $sgpr10
	s_branch .LBB5_111
.LBB5_110:                              ;   in Loop: Header=BB5_111 Depth=2
	s_or_b32 exec_lo, exec_lo, s12
	s_xor_b32 s0, s10, -1
	s_and_b32 s12, exec_lo, s11
	s_delay_alu instid0(SALU_CYCLE_1) | instskip(SKIP_2) | instid1(SALU_CYCLE_1)
	s_or_b32 s8, s12, s8
	s_and_not1_b32 s9, s9, exec_lo
	s_and_b32 s0, s0, exec_lo
	s_or_b32 s9, s9, s0
	s_and_not1_b32 exec_lo, exec_lo, s8
	s_cbranch_execz .LBB5_113
.LBB5_111:                              ;   Parent Loop BB5_108 Depth=1
                                        ; =>  This Inner Loop Header: Depth=2
	s_or_b32 s10, s10, exec_lo
	s_or_b32 s11, s11, exec_lo
	s_mov_b32 s12, exec_lo
	v_cmpx_gt_i64_e64 s[36:37], v[8:9]
	s_cbranch_execz .LBB5_110
; %bb.112:                              ;   in Loop: Header=BB5_111 Depth=2
	v_mul_lo_u32 v14, v7, v8
	v_mul_lo_u32 v15, v6, v9
	v_mad_u64_u32 v[12:13], null, v6, v8, 0
	v_add_co_u32 v8, vcc_lo, v8, s34
	v_add_co_ci_u32_e32 v9, vcc_lo, 0, v9, vcc_lo
	v_sub_co_u32 v6, vcc_lo, v6, s34
	s_delay_alu instid0(VALU_DEP_4) | instskip(SKIP_1) | instid1(VALU_DEP_4)
	v_add3_u32 v13, v13, v15, v14
	v_subrev_co_ci_u32_e32 v7, vcc_lo, 0, v7, vcc_lo
	v_cmp_gt_u64_e32 vcc_lo, v[8:9], v[42:43]
	s_and_not1_b32 s10, s10, exec_lo
	s_delay_alu instid0(VALU_DEP_3) | instskip(NEXT) | instid1(VALU_DEP_1)
	v_lshrrev_b32_e32 v13, 31, v13
	v_add_nc_u32_e32 v12, v12, v13
	s_delay_alu instid0(VALU_DEP_1) | instskip(NEXT) | instid1(VALU_DEP_1)
	v_lshrrev_b32_e32 v12, 1, v12
	v_add_nc_u32_e32 v12, v11, v12
	v_subrev_nc_u32_e32 v11, s34, v11
	s_delay_alu instid0(VALU_DEP_2) | instskip(SKIP_4) | instid1(VALU_DEP_1)
	v_lshl_add_u32 v12, v12, 2, 0
	ds_load_b32 v12, v12
	s_waitcnt lgkmcnt(0)
	flat_store_b32 v[4:5], v12
	v_add_co_u32 v4, s0, v4, s5
	v_add_co_ci_u32_e64 v5, s0, 0, v5, s0
	s_and_not1_b32 s0, s11, exec_lo
	s_and_b32 s11, vcc_lo, exec_lo
	s_delay_alu instid0(SALU_CYCLE_1)
	s_or_b32 s11, s0, s11
	s_branch .LBB5_110
.LBB5_113:                              ;   in Loop: Header=BB5_108 Depth=1
	s_or_b32 exec_lo, exec_lo, s8
	s_mov_b32 s8, -1
	s_or_not1_b32 s9, s9, exec_lo
.LBB5_114:                              ;   in Loop: Header=BB5_108 Depth=1
	s_or_b32 exec_lo, exec_lo, s7
	s_mov_b32 s0, -1
	s_and_saveexec_b32 s7, s9
	s_cbranch_execz .LBB5_107
; %bb.115:                              ;   in Loop: Header=BB5_108 Depth=1
	v_add_co_u32 v42, vcc_lo, v42, s28
	v_add_co_ci_u32_e32 v43, vcc_lo, 0, v43, vcc_lo
	v_add_co_u32 v2, s0, v2, s2
	v_add_nc_u32_e32 v10, s28, v10
	s_delay_alu instid0(VALU_DEP_3)
	v_cmp_le_i64_e32 vcc_lo, s[36:37], v[42:43]
	v_add_co_ci_u32_e64 v3, s0, s3, v3, s0
	s_and_not1_b32 s8, s8, exec_lo
	s_or_not1_b32 s0, vcc_lo, exec_lo
	s_branch .LBB5_107
.LBB5_116:
	s_or_b32 exec_lo, exec_lo, s1
	s_mov_b32 s0, -1
	s_mov_b32 s1, s35
	s_and_saveexec_b32 s2, s4
	s_delay_alu instid0(SALU_CYCLE_1)
	s_xor_b32 s29, exec_lo, s2
	s_cbranch_execz .LBB5_118
; %bb.117:
	s_add_u32 s8, s22, 56
	s_addc_u32 s9, s23, 0
	s_getpc_b64 s[0:1]
	s_add_u32 s0, s0, .str.8@rel32@lo+4
	s_addc_u32 s1, s1, .str.8@rel32@hi+12
	s_getpc_b64 s[2:3]
	s_add_u32 s2, s2, __PRETTY_FUNCTION__._ZN9rocsolver6v33100L9idx_lowerIlEET_S2_S2_S2_@rel32@lo+4
	s_addc_u32 s3, s3, __PRETTY_FUNCTION__._ZN9rocsolver6v33100L9idx_lowerIlEET_S2_S2_S2_@rel32@hi+12
	v_dual_mov_b32 v0, s0 :: v_dual_mov_b32 v1, s1
	v_dual_mov_b32 v2, 0x51 :: v_dual_mov_b32 v3, s2
	v_mov_b32_e32 v4, s3
	s_getpc_b64 s[4:5]
	s_add_u32 s4, s4, __assert_fail@rel32@lo+4
	s_addc_u32 s5, s5, __assert_fail@rel32@hi+12
	s_delay_alu instid0(SALU_CYCLE_1)
	s_swappc_b64 s[30:31], s[4:5]
	s_or_b32 s1, s35, exec_lo
	s_xor_b32 s0, exec_lo, -1
.LBB5_118:
	s_or_b32 exec_lo, exec_lo, s29
	s_delay_alu instid0(SALU_CYCLE_1)
	s_and_not1_b32 s2, s35, exec_lo
	s_and_b32 s1, s1, exec_lo
	s_or_not1_b32 s0, s0, exec_lo
	s_or_b32 s29, s2, s1
.LBB5_119:
	s_or_b32 exec_lo, exec_lo, s44
.LBB5_120:
	s_and_saveexec_b32 s1, s0
	s_cbranch_execz .LBB5_124
.LBB5_121:
	s_waitcnt lgkmcnt(0)
	s_waitcnt_vscnt null, 0x0
	s_barrier
	s_and_not1_b32 s27, s27, exec_lo
	buffer_gl0_inv
	s_or_b32 exec_lo, exec_lo, s1
	s_and_saveexec_b32 s0, s27
	s_delay_alu instid0(SALU_CYCLE_1)
	s_xor_b32 s21, exec_lo, s0
	s_cbranch_execnz .LBB5_125
	s_branch .LBB5_126
.LBB5_122:
	s_or_b32 exec_lo, exec_lo, s4
	s_delay_alu instid0(SALU_CYCLE_1)
	s_mov_b32 s27, exec_lo
	s_or_not1_b32 s0, s6, exec_lo
.LBB5_123:
	s_or_b32 exec_lo, exec_lo, s1
	s_and_saveexec_b32 s1, s0
	s_cbranch_execnz .LBB5_121
.LBB5_124:
	s_or_b32 exec_lo, exec_lo, s1
	s_and_saveexec_b32 s0, s27
	s_delay_alu instid0(SALU_CYCLE_1)
	s_xor_b32 s21, exec_lo, s0
	s_cbranch_execz .LBB5_126
.LBB5_125:
	s_add_u32 s8, s22, 56
	s_addc_u32 s9, s23, 0
	s_getpc_b64 s[0:1]
	s_add_u32 s0, s0, .str.7@rel32@lo+4
	s_addc_u32 s1, s1, .str.7@rel32@hi+12
	s_getpc_b64 s[2:3]
	s_add_u32 s2, s2, __PRETTY_FUNCTION__._ZN9rocsolver6v33100L9idx_lowerIlEET_S2_S2_S2_@rel32@lo+4
	s_addc_u32 s3, s3, __PRETTY_FUNCTION__._ZN9rocsolver6v33100L9idx_lowerIlEET_S2_S2_S2_@rel32@hi+12
	v_dual_mov_b32 v0, s0 :: v_dual_mov_b32 v1, s1
	v_dual_mov_b32 v2, 0x50 :: v_dual_mov_b32 v3, s2
	v_mov_b32_e32 v4, s3
	s_getpc_b64 s[4:5]
	s_add_u32 s4, s4, __assert_fail@rel32@lo+4
	s_addc_u32 s5, s5, __assert_fail@rel32@hi+12
	s_delay_alu instid0(SALU_CYCLE_1)
	s_swappc_b64 s[30:31], s[4:5]
	s_or_b32 s29, s29, exec_lo
.LBB5_126:
	s_or_b32 exec_lo, exec_lo, s21
	s_delay_alu instid0(SALU_CYCLE_1)
	s_and_not1_b32 s0, s35, exec_lo
	s_and_b32 s1, s29, exec_lo
	s_and_not1_b32 s25, s25, exec_lo
	s_or_b32 s27, s0, s1
.LBB5_127:
	s_or_b32 exec_lo, exec_lo, s26
	s_and_saveexec_b32 s0, s25
	s_delay_alu instid0(SALU_CYCLE_1)
	s_xor_b32 s21, exec_lo, s0
	s_cbranch_execz .LBB5_129
; %bb.128:
	s_add_u32 s8, s22, 56
	s_addc_u32 s9, s23, 0
	s_getpc_b64 s[0:1]
	s_add_u32 s0, s0, .str.8@rel32@lo+4
	s_addc_u32 s1, s1, .str.8@rel32@hi+12
	s_getpc_b64 s[2:3]
	s_add_u32 s2, s2, __PRETTY_FUNCTION__._ZN9rocsolver6v33100L9idx_lowerIlEET_S2_S2_S2_@rel32@lo+4
	s_addc_u32 s3, s3, __PRETTY_FUNCTION__._ZN9rocsolver6v33100L9idx_lowerIlEET_S2_S2_S2_@rel32@hi+12
	v_dual_mov_b32 v0, s0 :: v_dual_mov_b32 v1, s1
	v_dual_mov_b32 v2, 0x51 :: v_dual_mov_b32 v3, s2
	v_mov_b32_e32 v4, s3
	s_getpc_b64 s[4:5]
	s_add_u32 s4, s4, __assert_fail@rel32@lo+4
	s_addc_u32 s5, s5, __assert_fail@rel32@hi+12
	s_delay_alu instid0(SALU_CYCLE_1) | instskip(SKIP_3) | instid1(SALU_CYCLE_1)
	s_swappc_b64 s[30:31], s[4:5]
	s_or_b32 s27, s27, exec_lo
	s_or_b32 exec_lo, exec_lo, s21
	s_and_saveexec_b32 s0, s24
	s_xor_b32 s21, exec_lo, s0
	s_cbranch_execnz .LBB5_130
	s_branch .LBB5_131
.LBB5_129:
	s_or_b32 exec_lo, exec_lo, s21
	s_and_saveexec_b32 s0, s24
	s_delay_alu instid0(SALU_CYCLE_1)
	s_xor_b32 s21, exec_lo, s0
	s_cbranch_execz .LBB5_131
.LBB5_130:
	s_add_u32 s8, s22, 56
	s_addc_u32 s9, s23, 0
	s_getpc_b64 s[0:1]
	s_add_u32 s0, s0, .str.8@rel32@lo+4
	s_addc_u32 s1, s1, .str.8@rel32@hi+12
	s_getpc_b64 s[2:3]
	s_add_u32 s2, s2, __PRETTY_FUNCTION__._ZN9rocsolver6v33100L9idx_lowerIlEET_S2_S2_S2_@rel32@lo+4
	s_addc_u32 s3, s3, __PRETTY_FUNCTION__._ZN9rocsolver6v33100L9idx_lowerIlEET_S2_S2_S2_@rel32@hi+12
	v_dual_mov_b32 v0, s0 :: v_dual_mov_b32 v1, s1
	v_dual_mov_b32 v2, 0x51 :: v_dual_mov_b32 v3, s2
	v_mov_b32_e32 v4, s3
	s_getpc_b64 s[4:5]
	s_add_u32 s4, s4, __assert_fail@rel32@lo+4
	s_addc_u32 s5, s5, __assert_fail@rel32@hi+12
	s_delay_alu instid0(SALU_CYCLE_1)
	s_swappc_b64 s[30:31], s[4:5]
	s_or_b32 s27, s27, exec_lo
.LBB5_131:
	s_or_b32 exec_lo, exec_lo, s21
	s_delay_alu instid0(SALU_CYCLE_1)
	s_and_not1_b32 s0, s35, exec_lo
	s_and_b32 s1, s27, exec_lo
	s_and_not1_b32 s38, s38, exec_lo
	s_or_b32 s35, s0, s1
	s_or_b32 exec_lo, exec_lo, s39
	s_and_saveexec_b32 s0, s38
	s_delay_alu instid0(SALU_CYCLE_1)
	s_xor_b32 s21, exec_lo, s0
	s_cbranch_execz .LBB5_40
	s_branch .LBB5_39
	.section	.rodata,"a",@progbits
	.p2align	6, 0x0
	.amdhsa_kernel _ZN9rocsolver6v33100L18potf2_kernel_smallIfllPKPfEEvbT0_T2_lS5_lPT1_
		.amdhsa_group_segment_fixed_size 0
		.amdhsa_private_segment_fixed_size 64
		.amdhsa_kernarg_size 312
		.amdhsa_user_sgpr_count 14
		.amdhsa_user_sgpr_dispatch_ptr 0
		.amdhsa_user_sgpr_queue_ptr 0
		.amdhsa_user_sgpr_kernarg_segment_ptr 1
		.amdhsa_user_sgpr_dispatch_id 0
		.amdhsa_user_sgpr_private_segment_size 0
		.amdhsa_wavefront_size32 1
		.amdhsa_uses_dynamic_stack 0
		.amdhsa_enable_private_segment 1
		.amdhsa_system_sgpr_workgroup_id_x 1
		.amdhsa_system_sgpr_workgroup_id_y 0
		.amdhsa_system_sgpr_workgroup_id_z 1
		.amdhsa_system_sgpr_workgroup_info 0
		.amdhsa_system_vgpr_workitem_id 2
		.amdhsa_next_free_vgpr 51
		.amdhsa_next_free_sgpr 46
		.amdhsa_reserve_vcc 1
		.amdhsa_float_round_mode_32 0
		.amdhsa_float_round_mode_16_64 0
		.amdhsa_float_denorm_mode_32 3
		.amdhsa_float_denorm_mode_16_64 3
		.amdhsa_dx10_clamp 1
		.amdhsa_ieee_mode 1
		.amdhsa_fp16_overflow 0
		.amdhsa_workgroup_processor_mode 1
		.amdhsa_memory_ordered 1
		.amdhsa_forward_progress 0
		.amdhsa_shared_vgpr_count 0
		.amdhsa_exception_fp_ieee_invalid_op 0
		.amdhsa_exception_fp_denorm_src 0
		.amdhsa_exception_fp_ieee_div_zero 0
		.amdhsa_exception_fp_ieee_overflow 0
		.amdhsa_exception_fp_ieee_underflow 0
		.amdhsa_exception_fp_ieee_inexact 0
		.amdhsa_exception_int_div_zero 0
	.end_amdhsa_kernel
	.section	.text._ZN9rocsolver6v33100L18potf2_kernel_smallIfllPKPfEEvbT0_T2_lS5_lPT1_,"axG",@progbits,_ZN9rocsolver6v33100L18potf2_kernel_smallIfllPKPfEEvbT0_T2_lS5_lPT1_,comdat
.Lfunc_end5:
	.size	_ZN9rocsolver6v33100L18potf2_kernel_smallIfllPKPfEEvbT0_T2_lS5_lPT1_, .Lfunc_end5-_ZN9rocsolver6v33100L18potf2_kernel_smallIfllPKPfEEvbT0_T2_lS5_lPT1_
                                        ; -- End function
	.section	.AMDGPU.csdata,"",@progbits
; Kernel info:
; codeLenInByte = 5808
; NumSgprs: 48
; NumVgprs: 51
; ScratchSize: 64
; MemoryBound: 1
; FloatMode: 240
; IeeeMode: 1
; LDSByteSize: 0 bytes/workgroup (compile time only)
; SGPRBlocks: 5
; VGPRBlocks: 6
; NumSGPRsForWavesPerEU: 48
; NumVGPRsForWavesPerEU: 51
; Occupancy: 16
; WaveLimiterHint : 1
; COMPUTE_PGM_RSRC2:SCRATCH_EN: 1
; COMPUTE_PGM_RSRC2:USER_SGPR: 14
; COMPUTE_PGM_RSRC2:TRAP_HANDLER: 0
; COMPUTE_PGM_RSRC2:TGID_X_EN: 1
; COMPUTE_PGM_RSRC2:TGID_Y_EN: 0
; COMPUTE_PGM_RSRC2:TGID_Z_EN: 1
; COMPUTE_PGM_RSRC2:TIDIG_COMP_CNT: 2
	.section	.text._ZN9rocsolver6v33100L18potf2_kernel_smallIfliPfEEvbT0_T2_lS3_lPT1_,"axG",@progbits,_ZN9rocsolver6v33100L18potf2_kernel_smallIfliPfEEvbT0_T2_lS3_lPT1_,comdat
	.globl	_ZN9rocsolver6v33100L18potf2_kernel_smallIfliPfEEvbT0_T2_lS3_lPT1_ ; -- Begin function _ZN9rocsolver6v33100L18potf2_kernel_smallIfliPfEEvbT0_T2_lS3_lPT1_
	.p2align	8
	.type	_ZN9rocsolver6v33100L18potf2_kernel_smallIfliPfEEvbT0_T2_lS3_lPT1_,@function
_ZN9rocsolver6v33100L18potf2_kernel_smallIfliPfEEvbT0_T2_lS3_lPT1_: ; @_ZN9rocsolver6v33100L18potf2_kernel_smallIfliPfEEvbT0_T2_lS3_lPT1_
; %bb.0:
	s_load_b64 s[34:35], s[0:1], 0x44
	s_mov_b64 s[22:23], s[0:1]
	v_mov_b32_e32 v41, v0
	s_mov_b32 s28, s15
	s_mov_b32 s32, 0
	s_waitcnt lgkmcnt(0)
	v_cmp_eq_u16_e64 s0, s35, 1
	s_delay_alu instid0(VALU_DEP_1)
	s_and_b32 vcc_lo, exec_lo, s0
	s_cbranch_vccnz .LBB6_2
; %bb.1:
	s_add_u32 s8, s22, 56
	s_addc_u32 s9, s23, 0
	s_getpc_b64 s[0:1]
	s_add_u32 s0, s0, .str@rel32@lo+4
	s_addc_u32 s1, s1, .str@rel32@hi+12
	s_getpc_b64 s[2:3]
	s_add_u32 s2, s2, __PRETTY_FUNCTION__._ZN9rocsolver6v33100L18potf2_kernel_smallIfliPfEEvbT0_T2_lS3_lPT1_@rel32@lo+4
	s_addc_u32 s3, s3, __PRETTY_FUNCTION__._ZN9rocsolver6v33100L18potf2_kernel_smallIfliPfEEvbT0_T2_lS3_lPT1_@rel32@hi+12
	v_dual_mov_b32 v0, s0 :: v_dual_mov_b32 v1, s1
	v_dual_mov_b32 v2, 0x125 :: v_dual_mov_b32 v3, s2
	v_mov_b32_e32 v4, s3
	s_getpc_b64 s[4:5]
	s_add_u32 s4, s4, __assert_fail@rel32@lo+4
	s_addc_u32 s5, s5, __assert_fail@rel32@hi+12
	s_delay_alu instid0(SALU_CYCLE_1)
	s_swappc_b64 s[30:31], s[4:5]
	s_mov_b32 s35, -1
	s_cbranch_execz .LBB6_3
	s_branch .LBB6_125
.LBB6_2:
	s_mov_b32 s35, 0
.LBB6_3:
	s_load_b256 s[36:43], s[22:23], 0x8
	s_waitcnt lgkmcnt(0)
	s_cmp_lg_u64 s[38:39], 0
	s_cbranch_scc0 .LBB6_17
; %bb.4:
	s_load_b128 s[24:27], s[22:23], 0x28
	s_waitcnt lgkmcnt(0)
	s_cmp_lg_u64 s[26:27], 0
	s_cbranch_scc0 .LBB6_18
; %bb.5:
	s_load_b32 s0, s[22:23], 0x0
	v_dual_mov_b32 v45, 0 :: v_dual_and_b32 v42, 0x3ff, v41
	v_bfe_u32 v44, v41, 10, 10
	s_mov_b32 s45, 0
	s_mov_b32 s1, -1
	s_mov_b32 s29, s45
	s_waitcnt lgkmcnt(0)
	s_waitcnt_vscnt null, 0x0
	v_cmp_gt_i64_e64 s21, s[36:37], v[44:45]
	s_barrier
	buffer_gl0_inv
	s_bitcmp1_b32 s0, 0
	s_cselect_b32 s0, -1, 0
	s_lshr_b32 s44, s34, 16
	s_xor_b32 s47, s0, -1
	s_and_b32 s34, s34, 0xffff
	s_and_b32 vcc_lo, exec_lo, s47
	s_cbranch_vccz .LBB6_19
; %bb.6:
	s_mov_b32 s0, -1
	s_and_saveexec_b32 s46, s21
	s_cbranch_execz .LBB6_23
; %bb.7:
	v_mad_u64_u32 v[0:1], null, s42, v44, 0
	s_mul_i32 s0, s25, s28
	s_mul_hi_u32 s5, s24, s28
	s_mul_i32 s4, s24, s28
	s_add_i32 s5, s5, s0
	s_lshl_b64 s[2:3], s[36:37], 1
	s_lshl_b64 s[6:7], s[40:41], 2
	s_delay_alu instid0(VALU_DEP_1)
	v_mad_u64_u32 v[2:3], null, s43, v44, v[1:2]
	s_lshl_b64 s[4:5], s[4:5], 2
	s_or_b32 s2, s2, 1
	s_add_u32 s0, s6, s4
	s_addc_u32 s6, s7, s5
	s_lshl_b64 s[4:5], s[42:43], 2
	s_mov_b32 s1, 0
	s_delay_alu instid0(VALU_DEP_1)
	v_mov_b32_e32 v1, v2
	v_add_lshl_u32 v2, v44, v42, 2
	s_add_u32 s4, s4, 4
	s_addc_u32 s5, s5, 0
	s_lshl_b32 s7, s34, 2
	v_lshlrev_b64 v[0:1], 2, v[0:1]
	s_mul_i32 s5, s5, s44
                                        ; implicit-def: $sgpr8
	s_delay_alu instid0(VALU_DEP_1) | instskip(NEXT) | instid1(VALU_DEP_2)
	v_add_co_u32 v0, vcc_lo, s0, v0
	v_add_co_ci_u32_e32 v1, vcc_lo, s6, v1, vcc_lo
	s_mul_hi_u32 s0, s4, s44
	s_delay_alu instid0(VALU_DEP_2) | instskip(SKIP_1) | instid1(VALU_DEP_3)
	v_add_co_u32 v0, vcc_lo, v0, v2
	v_mov_b32_e32 v2, v44
	v_add_co_ci_u32_e32 v1, vcc_lo, 0, v1, vcc_lo
	s_delay_alu instid0(VALU_DEP_3) | instskip(SKIP_1) | instid1(VALU_DEP_3)
	v_add_co_u32 v0, vcc_lo, s38, v0
	v_mov_b32_e32 v3, v45
	v_add_co_ci_u32_e32 v1, vcc_lo, s39, v1, vcc_lo
	s_add_i32 s5, s0, s5
	s_mul_i32 s6, s4, s44
                                        ; implicit-def: $sgpr4
	s_branch .LBB6_9
.LBB6_8:                                ;   in Loop: Header=BB6_9 Depth=1
	s_or_b32 exec_lo, exec_lo, s9
	s_delay_alu instid0(SALU_CYCLE_1) | instskip(NEXT) | instid1(SALU_CYCLE_1)
	s_and_b32 s0, exec_lo, s10
	s_or_b32 s1, s0, s1
	s_and_not1_b32 s0, s4, exec_lo
	s_and_b32 s4, s8, exec_lo
	s_delay_alu instid0(SALU_CYCLE_1)
	s_or_b32 s4, s0, s4
	s_and_not1_b32 exec_lo, exec_lo, s1
	s_cbranch_execz .LBB6_20
.LBB6_9:                                ; =>This Loop Header: Depth=1
                                        ;     Child Loop BB6_12 Depth 2
	v_add_co_u32 v4, vcc_lo, v2, v42
	v_add_co_ci_u32_e32 v5, vcc_lo, 0, v3, vcc_lo
	s_mov_b32 s0, -1
	s_mov_b32 s9, exec_lo
                                        ; implicit-def: $sgpr10
	s_delay_alu instid0(VALU_DEP_1)
	v_cmpx_gt_i64_e64 s[36:37], v[4:5]
	s_cbranch_execz .LBB6_15
; %bb.10:                               ;   in Loop: Header=BB6_9 Depth=1
	v_sub_co_u32 v8, vcc_lo, s2, v2
	v_sub_co_ci_u32_e32 v6, vcc_lo, s3, v3, vcc_lo
	s_mov_b32 s10, 0
	s_delay_alu instid0(VALU_DEP_2) | instskip(NEXT) | instid1(VALU_DEP_2)
	v_mul_lo_u32 v10, v8, v3
                                        ; implicit-def: $sgpr11
                                        ; implicit-def: $sgpr13
                                        ; implicit-def: $sgpr12
	v_mul_lo_u32 v9, v6, v2
	v_mad_u64_u32 v[6:7], null, v8, v2, 0
	s_delay_alu instid0(VALU_DEP_1) | instskip(NEXT) | instid1(VALU_DEP_1)
	v_add3_u32 v7, v7, v10, v9
	v_lshrrev_b32_e32 v7, 31, v7
	s_delay_alu instid0(VALU_DEP_1) | instskip(NEXT) | instid1(VALU_DEP_1)
	v_add_nc_u32_e32 v6, v6, v7
	v_lshrrev_b32_e32 v6, 1, v6
	s_delay_alu instid0(VALU_DEP_1) | instskip(NEXT) | instid1(VALU_DEP_1)
	v_add_nc_u32_e32 v6, v42, v6
	v_lshl_add_u32 v8, v6, 2, 0
	v_dual_mov_b32 v7, v1 :: v_dual_mov_b32 v6, v0
	s_set_inst_prefetch_distance 0x1
	s_branch .LBB6_12
	.p2align	6
.LBB6_11:                               ;   in Loop: Header=BB6_12 Depth=2
	s_or_b32 exec_lo, exec_lo, s14
	s_xor_b32 s0, s12, -1
	s_and_b32 s14, exec_lo, s13
	s_delay_alu instid0(SALU_CYCLE_1) | instskip(SKIP_2) | instid1(SALU_CYCLE_1)
	s_or_b32 s10, s14, s10
	s_and_not1_b32 s11, s11, exec_lo
	s_and_b32 s0, s0, exec_lo
	s_or_b32 s11, s11, s0
	s_and_not1_b32 exec_lo, exec_lo, s10
	s_cbranch_execz .LBB6_14
.LBB6_12:                               ;   Parent Loop BB6_9 Depth=1
                                        ; =>  This Inner Loop Header: Depth=2
	s_or_b32 s12, s12, exec_lo
	s_or_b32 s13, s13, exec_lo
	s_mov_b32 s14, exec_lo
	v_cmpx_ge_u64_e64 v[4:5], v[2:3]
	s_cbranch_execz .LBB6_11
; %bb.13:                               ;   in Loop: Header=BB6_12 Depth=2
	global_load_b32 v9, v[6:7], off
	v_add_co_u32 v4, vcc_lo, v4, s34
	v_add_co_ci_u32_e32 v5, vcc_lo, 0, v5, vcc_lo
	v_add_co_u32 v6, s0, v6, s7
	s_delay_alu instid0(VALU_DEP_1) | instskip(NEXT) | instid1(VALU_DEP_3)
	v_add_co_ci_u32_e64 v7, s0, 0, v7, s0
	v_cmp_le_i64_e32 vcc_lo, s[36:37], v[4:5]
	s_and_not1_b32 s0, s13, exec_lo
	s_and_not1_b32 s12, s12, exec_lo
	s_and_b32 s13, vcc_lo, exec_lo
	s_delay_alu instid0(SALU_CYCLE_1)
	s_or_b32 s13, s0, s13
	s_waitcnt vmcnt(0)
	ds_store_b32 v8, v9
	v_add_nc_u32_e32 v8, s7, v8
	s_branch .LBB6_11
.LBB6_14:                               ;   in Loop: Header=BB6_9 Depth=1
	s_set_inst_prefetch_distance 0x2
	s_or_b32 exec_lo, exec_lo, s10
	s_mov_b32 s10, -1
	s_or_not1_b32 s0, s11, exec_lo
.LBB6_15:                               ;   in Loop: Header=BB6_9 Depth=1
	s_or_b32 exec_lo, exec_lo, s9
	s_delay_alu instid0(SALU_CYCLE_1)
	s_and_not1_b32 s8, s8, exec_lo
	s_and_b32 s9, s10, exec_lo
	s_mov_b32 s10, -1
	s_or_b32 s8, s8, s9
	s_and_saveexec_b32 s9, s0
	s_cbranch_execz .LBB6_8
; %bb.16:                               ;   in Loop: Header=BB6_9 Depth=1
	v_add_co_u32 v2, vcc_lo, v2, s44
	v_add_co_ci_u32_e32 v3, vcc_lo, 0, v3, vcc_lo
	v_add_co_u32 v0, s0, v0, s6
	s_delay_alu instid0(VALU_DEP_1) | instskip(NEXT) | instid1(VALU_DEP_3)
	v_add_co_ci_u32_e64 v1, s0, s5, v1, s0
	v_cmp_le_i64_e32 vcc_lo, s[36:37], v[2:3]
	s_and_not1_b32 s8, s8, exec_lo
	s_or_not1_b32 s10, vcc_lo, exec_lo
	s_branch .LBB6_8
.LBB6_17:
	s_cbranch_execnz .LBB6_124
	s_branch .LBB6_125
.LBB6_18:
	s_cbranch_execnz .LBB6_122
	s_branch .LBB6_123
.LBB6_19:
	s_mov_b32 s0, 0
	s_and_b32 vcc_lo, exec_lo, s1
	s_cbranch_vccnz .LBB6_24
	s_branch .LBB6_37
.LBB6_20:
	s_or_b32 exec_lo, exec_lo, s1
	s_mov_b32 s0, -1
	s_mov_b32 s1, s35
	s_and_saveexec_b32 s2, s4
	s_delay_alu instid0(SALU_CYCLE_1)
	s_xor_b32 s48, exec_lo, s2
	s_cbranch_execz .LBB6_22
; %bb.21:
	s_add_u32 s8, s22, 56
	s_addc_u32 s9, s23, 0
	s_getpc_b64 s[0:1]
	s_add_u32 s0, s0, .str.8@rel32@lo+4
	s_addc_u32 s1, s1, .str.8@rel32@hi+12
	s_getpc_b64 s[2:3]
	s_add_u32 s2, s2, __PRETTY_FUNCTION__._ZN9rocsolver6v33100L9idx_lowerIlEET_S2_S2_S2_@rel32@lo+4
	s_addc_u32 s3, s3, __PRETTY_FUNCTION__._ZN9rocsolver6v33100L9idx_lowerIlEET_S2_S2_S2_@rel32@hi+12
	v_dual_mov_b32 v0, s0 :: v_dual_mov_b32 v1, s1
	v_dual_mov_b32 v2, 0x51 :: v_dual_mov_b32 v3, s2
	v_mov_b32_e32 v4, s3
	s_getpc_b64 s[4:5]
	s_add_u32 s4, s4, __assert_fail@rel32@lo+4
	s_addc_u32 s5, s5, __assert_fail@rel32@hi+12
	s_delay_alu instid0(SALU_CYCLE_1)
	s_swappc_b64 s[30:31], s[4:5]
	s_or_b32 s1, s35, exec_lo
	s_xor_b32 s0, exec_lo, -1
.LBB6_22:
	s_or_b32 exec_lo, exec_lo, s48
	s_delay_alu instid0(SALU_CYCLE_1)
	s_and_not1_b32 s2, s35, exec_lo
	s_and_b32 s1, s1, exec_lo
	s_or_not1_b32 s0, s0, exec_lo
	s_or_b32 s35, s2, s1
.LBB6_23:
	s_or_b32 exec_lo, exec_lo, s46
	s_branch .LBB6_37
.LBB6_24:
	s_mov_b32 s0, -1
	s_mov_b32 s45, 0
	s_and_saveexec_b32 s1, s21
	s_cbranch_execz .LBB6_36
; %bb.25:
	v_mad_u64_u32 v[0:1], null, s42, v44, 0
	s_mul_i32 s0, s25, s28
	s_mul_hi_u32 s5, s24, s28
	s_lshl_b64 s[2:3], s[36:37], 1
	s_mul_i32 s4, s24, s28
	s_add_i32 s5, s5, s0
	s_lshl_b64 s[6:7], s[40:41], 2
	s_delay_alu instid0(VALU_DEP_1)
	v_mad_u64_u32 v[2:3], null, s43, v44, v[1:2]
	s_lshl_b64 s[4:5], s[4:5], 2
	v_lshlrev_b32_e32 v3, 2, v42
	v_mov_b32_e32 v43, 0
	s_mul_i32 s9, s43, s44
	s_mul_hi_u32 s10, s42, s44
	v_sub_nc_u32_e32 v12, v44, v42
	s_delay_alu instid0(VALU_DEP_4) | instskip(SKIP_1) | instid1(VALU_DEP_1)
	v_mov_b32_e32 v1, v2
	v_sub_co_u32 v2, s0, s2, v42
	v_sub_co_ci_u32_e64 v4, null, s3, 0, s0
	s_delay_alu instid0(VALU_DEP_3)
	v_lshlrev_b64 v[0:1], 2, v[0:1]
	s_add_u32 s0, s6, s4
	s_addc_u32 s2, s7, s5
	s_mul_i32 s8, s42, s44
	s_add_i32 s9, s10, s9
	s_mov_b32 s4, 0
	v_add_co_u32 v5, vcc_lo, s0, v0
	v_add_co_ci_u32_e32 v6, vcc_lo, s2, v1, vcc_lo
	v_add_co_u32 v0, vcc_lo, v2, 1
	v_add_co_ci_u32_e32 v1, vcc_lo, 0, v4, vcc_lo
	s_delay_alu instid0(VALU_DEP_4) | instskip(SKIP_2) | instid1(VALU_DEP_3)
	v_add_co_u32 v2, vcc_lo, v5, v3
	v_mov_b32_e32 v4, v44
	v_add_co_ci_u32_e32 v3, vcc_lo, 0, v6, vcc_lo
	v_add_co_u32 v2, vcc_lo, s38, v2
	v_mov_b32_e32 v5, v45
	s_delay_alu instid0(VALU_DEP_3)
	v_add_co_ci_u32_e32 v3, vcc_lo, s39, v3, vcc_lo
	s_lshl_b64 s[2:3], s[8:9], 2
	s_lshl_b32 s6, s34, 2
                                        ; implicit-def: $sgpr5
	s_branch .LBB6_27
.LBB6_26:                               ;   in Loop: Header=BB6_27 Depth=1
	s_or_b32 exec_lo, exec_lo, s7
	s_xor_b32 s7, s8, -1
	s_and_b32 s0, exec_lo, s0
	s_delay_alu instid0(SALU_CYCLE_1) | instskip(SKIP_2) | instid1(SALU_CYCLE_1)
	s_or_b32 s4, s0, s4
	s_and_not1_b32 s0, s5, exec_lo
	s_and_b32 s5, s7, exec_lo
	s_or_b32 s5, s0, s5
	s_and_not1_b32 exec_lo, exec_lo, s4
	s_cbranch_execz .LBB6_35
.LBB6_27:                               ; =>This Loop Header: Depth=1
                                        ;     Child Loop BB6_30 Depth 2
	s_mov_b32 s9, -1
	s_mov_b32 s7, exec_lo
                                        ; implicit-def: $sgpr8
	v_cmpx_ge_u64_e64 v[4:5], v[42:43]
	s_cbranch_execz .LBB6_33
; %bb.28:                               ;   in Loop: Header=BB6_27 Depth=1
	v_dual_mov_b32 v13, v12 :: v_dual_mov_b32 v10, v42
	v_dual_mov_b32 v7, v3 :: v_dual_mov_b32 v6, v2
	v_dual_mov_b32 v9, v1 :: v_dual_mov_b32 v8, v0
	v_mov_b32_e32 v11, v43
	s_mov_b32 s8, 0
                                        ; implicit-def: $sgpr9
                                        ; implicit-def: $sgpr11
                                        ; implicit-def: $sgpr10
	s_branch .LBB6_30
.LBB6_29:                               ;   in Loop: Header=BB6_30 Depth=2
	s_or_b32 exec_lo, exec_lo, s12
	s_xor_b32 s0, s10, -1
	s_and_b32 s12, exec_lo, s11
	s_delay_alu instid0(SALU_CYCLE_1) | instskip(SKIP_2) | instid1(SALU_CYCLE_1)
	s_or_b32 s8, s12, s8
	s_and_not1_b32 s9, s9, exec_lo
	s_and_b32 s0, s0, exec_lo
	s_or_b32 s9, s9, s0
	s_and_not1_b32 exec_lo, exec_lo, s8
	s_cbranch_execz .LBB6_32
.LBB6_30:                               ;   Parent Loop BB6_27 Depth=1
                                        ; =>  This Inner Loop Header: Depth=2
	s_or_b32 s10, s10, exec_lo
	s_or_b32 s11, s11, exec_lo
	s_mov_b32 s12, exec_lo
	v_cmpx_gt_i64_e64 s[36:37], v[10:11]
	s_cbranch_execz .LBB6_29
; %bb.31:                               ;   in Loop: Header=BB6_30 Depth=2
	global_load_b32 v16, v[6:7], off
	v_mul_lo_u32 v17, v9, v10
	v_mul_lo_u32 v18, v8, v11
	v_mad_u64_u32 v[14:15], null, v8, v10, 0
	v_add_co_u32 v10, vcc_lo, v10, s34
	v_add_co_ci_u32_e32 v11, vcc_lo, 0, v11, vcc_lo
	v_sub_co_u32 v8, vcc_lo, v8, s34
	s_delay_alu instid0(VALU_DEP_4) | instskip(SKIP_1) | instid1(VALU_DEP_4)
	v_add3_u32 v15, v15, v18, v17
	v_subrev_co_ci_u32_e32 v9, vcc_lo, 0, v9, vcc_lo
	v_cmp_gt_u64_e32 vcc_lo, v[10:11], v[4:5]
	v_add_co_u32 v6, s0, v6, s6
	s_delay_alu instid0(VALU_DEP_4) | instskip(SKIP_3) | instid1(VALU_DEP_2)
	v_lshrrev_b32_e32 v15, 31, v15
	v_add_co_ci_u32_e64 v7, s0, 0, v7, s0
	s_and_not1_b32 s0, s11, exec_lo
	s_and_b32 s11, vcc_lo, exec_lo
	v_add_nc_u32_e32 v14, v14, v15
	s_and_not1_b32 s10, s10, exec_lo
	s_or_b32 s11, s0, s11
	s_delay_alu instid0(VALU_DEP_1) | instskip(NEXT) | instid1(VALU_DEP_1)
	v_lshrrev_b32_e32 v14, 1, v14
	v_add_nc_u32_e32 v14, v13, v14
	v_subrev_nc_u32_e32 v13, s34, v13
	s_delay_alu instid0(VALU_DEP_2)
	v_lshl_add_u32 v14, v14, 2, 0
	s_waitcnt vmcnt(0)
	ds_store_b32 v14, v16
	s_branch .LBB6_29
.LBB6_32:                               ;   in Loop: Header=BB6_27 Depth=1
	s_or_b32 exec_lo, exec_lo, s8
	s_mov_b32 s8, -1
	s_or_not1_b32 s9, s9, exec_lo
.LBB6_33:                               ;   in Loop: Header=BB6_27 Depth=1
	s_or_b32 exec_lo, exec_lo, s7
	s_mov_b32 s0, -1
	s_and_saveexec_b32 s7, s9
	s_cbranch_execz .LBB6_26
; %bb.34:                               ;   in Loop: Header=BB6_27 Depth=1
	v_add_co_u32 v4, vcc_lo, v4, s44
	v_add_co_ci_u32_e32 v5, vcc_lo, 0, v5, vcc_lo
	v_add_co_u32 v2, s0, v2, s2
	v_add_nc_u32_e32 v12, s44, v12
	s_delay_alu instid0(VALU_DEP_3)
	v_cmp_le_i64_e32 vcc_lo, s[36:37], v[4:5]
	v_add_co_ci_u32_e64 v3, s0, s3, v3, s0
	s_and_not1_b32 s8, s8, exec_lo
	s_or_not1_b32 s0, vcc_lo, exec_lo
	s_branch .LBB6_26
.LBB6_35:
	s_or_b32 exec_lo, exec_lo, s4
	s_delay_alu instid0(SALU_CYCLE_1)
	s_mov_b32 s45, exec_lo
	s_or_not1_b32 s0, s5, exec_lo
.LBB6_36:
	s_or_b32 exec_lo, exec_lo, s1
.LBB6_37:
	s_and_saveexec_b32 s46, s0
	s_cbranch_execz .LBB6_119
; %bb.38:
	v_cmp_gt_i64_e64 s0, s[36:37], 0
	s_mov_b64 s[8:9], 0
	s_waitcnt lgkmcnt(0)
	s_waitcnt_vscnt null, 0x0
	s_barrier
	buffer_gl0_inv
	s_and_b32 vcc_lo, exec_lo, s0
	s_cbranch_vccz .LBB6_80
; %bb.39:
	v_bfe_u32 v0, v41, 20, 10
	s_mul_i32 s12, s44, s34
	v_mul_u32_u24_e32 v1, s34, v44
	s_lshl_b64 s[0:1], s[28:29], 2
	v_mov_b32_e32 v7, 0
	v_mul_lo_u32 v0, s12, v0
	s_add_u32 s2, s26, s0
	v_sub_nc_u32_e32 v8, v42, v44
	s_addc_u32 s3, s27, s1
	s_lshl_b64 s[4:5], s[36:37], 1
	s_mov_b32 s13, 0
	s_or_b32 s4, s4, 1
	s_lshl_b32 s15, s12, 2
	v_add3_u32 v6, v1, v42, v0
	s_lshl_b32 s16, s34, 2
	s_mov_b64 s[6:7], 0
                                        ; implicit-def: $sgpr17
                                        ; implicit-def: $sgpr14
	s_delay_alu instid0(VALU_DEP_1)
	v_cmp_eq_u32_e64 s0, 0, v6
	s_branch .LBB6_42
.LBB6_40:                               ;   in Loop: Header=BB6_42 Depth=1
	s_and_not1_b32 s19, s19, exec_lo
	s_and_not1_b32 s20, s20, exec_lo
	s_or_not1_b32 s10, s10, exec_lo
.LBB6_41:                               ;   in Loop: Header=BB6_42 Depth=1
	s_or_b32 exec_lo, exec_lo, s1
	s_xor_b32 s1, s19, -1
	s_xor_b32 s11, s20, -1
	s_and_b32 s10, exec_lo, s10
	s_delay_alu instid0(SALU_CYCLE_1)
	s_or_b32 s13, s10, s13
	s_and_not1_b32 s10, s14, exec_lo
	s_and_b32 s1, s1, exec_lo
	s_and_not1_b32 s17, s17, exec_lo
	s_and_b32 s11, s11, exec_lo
	s_or_b32 s14, s10, s1
	s_or_b32 s17, s17, s11
	s_and_not1_b32 exec_lo, exec_lo, s13
	s_cbranch_execz .LBB6_75
.LBB6_42:                               ; =>This Loop Header: Depth=1
                                        ;     Child Loop BB6_53 Depth 2
                                        ;     Child Loop BB6_62 Depth 2
                                        ;       Child Loop BB6_66 Depth 3
	s_add_u32 s1, s8, s4
	s_addc_u32 s9, s9, s5
	s_mul_i32 s10, s1, s7
	s_mul_hi_u32 s11, s1, s6
	s_mul_i32 s9, s9, s6
	s_add_i32 s10, s11, s10
	s_mul_i32 s1, s1, s6
	s_add_i32 s9, s10, s9
	s_mov_b32 s18, 0
	s_lshr_b32 s10, s9, 31
	s_delay_alu instid0(SALU_CYCLE_1) | instskip(SKIP_1) | instid1(SALU_CYCLE_1)
	s_add_u32 s10, s1, s10
	s_addc_u32 s11, s9, 0
	s_ashr_i64 s[10:11], s[10:11], 1
	s_delay_alu instid0(SALU_CYCLE_1) | instskip(NEXT) | instid1(SALU_CYCLE_1)
	s_lshl_b32 s1, s10, 2
	s_add_i32 s9, s1, 0
	s_mov_b32 s1, -1
	v_mov_b32_e32 v0, s9
	ds_load_b32 v0, v0
	s_waitcnt lgkmcnt(0)
	v_cmp_class_f32_e64 s11, v0, 0x180
	s_delay_alu instid0(VALU_DEP_1)
	s_and_b32 vcc_lo, exec_lo, s11
	s_cbranch_vccnz .LBB6_47
; %bb.43:                               ;   in Loop: Header=BB6_42 Depth=1
	s_and_saveexec_b32 s1, s0
	s_cbranch_execz .LBB6_46
; %bb.44:                               ;   in Loop: Header=BB6_42 Depth=1
	global_load_b32 v1, v7, s[2:3]
	s_waitcnt vmcnt(0)
	v_cmp_ne_u32_e32 vcc_lo, 0, v1
	s_cbranch_vccnz .LBB6_46
; %bb.45:                               ;   in Loop: Header=BB6_42 Depth=1
	s_add_i32 s18, s6, 1
	s_delay_alu instid0(SALU_CYCLE_1)
	v_mov_b32_e32 v1, s18
	global_store_b32 v7, v1, s[2:3]
.LBB6_46:                               ;   in Loop: Header=BB6_42 Depth=1
	s_or_b32 exec_lo, exec_lo, s1
	s_mov_b32 s1, 0
	s_mov_b32 s18, -1
.LBB6_47:                               ;   in Loop: Header=BB6_42 Depth=1
	s_and_not1_b32 vcc_lo, exec_lo, s1
	s_cbranch_vccnz .LBB6_55
; %bb.48:                               ;   in Loop: Header=BB6_42 Depth=1
	v_mul_f32_e32 v1, 0x4f800000, v0
	v_cmp_gt_f32_e32 vcc_lo, 0xf800000, v0
	s_delay_alu instid0(VALU_DEP_2) | instskip(NEXT) | instid1(VALU_DEP_1)
	v_cndmask_b32_e32 v0, v0, v1, vcc_lo
	v_sqrt_f32_e32 v1, v0
	s_waitcnt_depctr 0xfff
	v_add_nc_u32_e32 v2, -1, v1
	v_add_nc_u32_e32 v3, 1, v1
	s_delay_alu instid0(VALU_DEP_2) | instskip(NEXT) | instid1(VALU_DEP_2)
	v_fma_f32 v4, -v2, v1, v0
	v_fma_f32 v5, -v3, v1, v0
	s_delay_alu instid0(VALU_DEP_2) | instskip(NEXT) | instid1(VALU_DEP_1)
	v_cmp_ge_f32_e64 s1, 0, v4
	v_cndmask_b32_e64 v1, v1, v2, s1
	s_delay_alu instid0(VALU_DEP_3) | instskip(NEXT) | instid1(VALU_DEP_1)
	v_cmp_lt_f32_e64 s1, 0, v5
	v_cndmask_b32_e64 v1, v1, v3, s1
	s_delay_alu instid0(VALU_DEP_1) | instskip(NEXT) | instid1(VALU_DEP_1)
	v_mul_f32_e32 v2, 0x37800000, v1
	v_cndmask_b32_e32 v1, v1, v2, vcc_lo
	v_cmp_class_f32_e64 vcc_lo, v0, 0x260
	s_delay_alu instid0(VALU_DEP_2)
	v_cndmask_b32_e32 v2, v1, v0, vcc_lo
	s_and_saveexec_b32 s1, s0
	s_cbranch_execz .LBB6_50
; %bb.49:                               ;   in Loop: Header=BB6_42 Depth=1
	v_mov_b32_e32 v0, s9
	ds_store_b32 v0, v2
.LBB6_50:                               ;   in Loop: Header=BB6_42 Depth=1
	s_or_b32 exec_lo, exec_lo, s1
	s_add_u32 s1, s6, 1
	s_addc_u32 s27, s7, 0
	v_add_co_u32 v0, s9, s1, v6
	s_delay_alu instid0(VALU_DEP_1)
	v_add_co_ci_u32_e64 v1, null, s27, 0, s9
	s_mov_b32 s26, -1
	s_mov_b32 s9, exec_lo
	s_waitcnt lgkmcnt(0)
	s_waitcnt_vscnt null, 0x0
	s_barrier
	buffer_gl0_inv
                                        ; implicit-def: $sgpr19
                                        ; implicit-def: $sgpr20
	v_cmpx_gt_i64_e64 s[36:37], v[0:1]
	s_cbranch_execz .LBB6_57
; %bb.51:                               ;   in Loop: Header=BB6_42 Depth=1
	v_add_lshl_u32 v3, v6, s10, 2
	s_mov_b32 s19, 0
                                        ; implicit-def: $sgpr26
                                        ; implicit-def: $sgpr29
                                        ; implicit-def: $sgpr20
	s_delay_alu instid0(VALU_DEP_1)
	v_add3_u32 v3, 0, 4, v3
	s_set_inst_prefetch_distance 0x1
	s_branch .LBB6_53
	.p2align	6
.LBB6_52:                               ;   in Loop: Header=BB6_53 Depth=2
	s_or_b32 exec_lo, exec_lo, s30
	s_xor_b32 s30, s20, -1
	s_and_b32 s31, exec_lo, s29
	s_delay_alu instid0(SALU_CYCLE_1) | instskip(SKIP_2) | instid1(SALU_CYCLE_1)
	s_or_b32 s19, s31, s19
	s_and_not1_b32 s26, s26, exec_lo
	s_and_b32 s30, s30, exec_lo
	s_or_b32 s26, s26, s30
	s_and_not1_b32 exec_lo, exec_lo, s19
	s_cbranch_execz .LBB6_56
.LBB6_53:                               ;   Parent Loop BB6_42 Depth=1
                                        ; =>  This Inner Loop Header: Depth=2
	s_or_b32 s20, s20, exec_lo
	s_or_b32 s29, s29, exec_lo
	s_mov_b32 s30, exec_lo
	v_cmpx_le_u64_e64 s[6:7], v[0:1]
	s_cbranch_execz .LBB6_52
; %bb.54:                               ;   in Loop: Header=BB6_53 Depth=2
	ds_load_b32 v4, v3
	s_and_not1_b32 s29, s29, exec_lo
	s_and_not1_b32 s20, s20, exec_lo
	s_waitcnt lgkmcnt(0)
	v_div_scale_f32 v5, null, v2, v2, v4
	v_div_scale_f32 v11, vcc_lo, v4, v2, v4
	s_delay_alu instid0(VALU_DEP_2) | instskip(SKIP_2) | instid1(VALU_DEP_1)
	v_rcp_f32_e32 v9, v5
	s_waitcnt_depctr 0xfff
	v_fma_f32 v10, -v5, v9, 1.0
	v_fmac_f32_e32 v9, v10, v9
	s_delay_alu instid0(VALU_DEP_1) | instskip(NEXT) | instid1(VALU_DEP_1)
	v_mul_f32_e32 v10, v11, v9
	v_fma_f32 v12, -v5, v10, v11
	s_delay_alu instid0(VALU_DEP_1) | instskip(NEXT) | instid1(VALU_DEP_1)
	v_fmac_f32_e32 v10, v12, v9
	v_fma_f32 v5, -v5, v10, v11
	s_delay_alu instid0(VALU_DEP_1) | instskip(SKIP_2) | instid1(VALU_DEP_3)
	v_div_fmas_f32 v5, v5, v9, v10
	v_add_co_u32 v0, vcc_lo, v0, s12
	v_add_co_ci_u32_e32 v1, vcc_lo, 0, v1, vcc_lo
	v_div_fixup_f32 v4, v5, v2, v4
	s_delay_alu instid0(VALU_DEP_2) | instskip(SKIP_3) | instid1(SALU_CYCLE_1)
	v_cmp_le_i64_e32 vcc_lo, s[36:37], v[0:1]
	ds_store_b32 v3, v4
	v_add_nc_u32_e32 v3, s15, v3
	s_and_b32 s31, vcc_lo, exec_lo
	s_or_b32 s29, s29, s31
	s_branch .LBB6_52
.LBB6_55:                               ;   in Loop: Header=BB6_42 Depth=1
                                        ; implicit-def: $sgpr20
                                        ; implicit-def: $sgpr19
	s_mov_b32 s10, -1
                                        ; implicit-def: $sgpr8_sgpr9
	s_and_saveexec_b32 s1, s18
	s_delay_alu instid0(SALU_CYCLE_1)
	s_xor_b32 s1, exec_lo, s1
	s_cbranch_execz .LBB6_41
	s_branch .LBB6_73
.LBB6_56:                               ;   in Loop: Header=BB6_42 Depth=1
	s_set_inst_prefetch_distance 0x2
	s_or_b32 exec_lo, exec_lo, s19
	s_mov_b32 s20, -1
	s_mov_b32 s19, 0
	s_or_not1_b32 s26, s26, exec_lo
.LBB6_57:                               ;   in Loop: Header=BB6_42 Depth=1
	s_or_b32 exec_lo, exec_lo, s9
	s_and_saveexec_b32 s9, s26
	s_delay_alu instid0(SALU_CYCLE_1)
	s_xor_b32 s9, exec_lo, s9
	s_cbranch_execz .LBB6_72
; %bb.58:                               ;   in Loop: Header=BB6_42 Depth=1
	v_add_co_u32 v0, s26, s1, v44
	s_delay_alu instid0(VALU_DEP_1)
	v_add_co_ci_u32_e64 v1, null, s27, 0, s26
	s_mov_b32 s31, -1
	s_mov_b32 s26, exec_lo
	s_waitcnt lgkmcnt(0)
	s_barrier
	buffer_gl0_inv
                                        ; implicit-def: $sgpr30
                                        ; implicit-def: $sgpr29
	v_cmpx_gt_i64_e64 s[36:37], v[0:1]
	s_cbranch_execz .LBB6_69
; %bb.59:                               ;   in Loop: Header=BB6_42 Depth=1
	v_add_co_u32 v2, s1, s1, v42
	s_delay_alu instid0(VALU_DEP_1) | instskip(SKIP_3) | instid1(VALU_DEP_3)
	v_add_co_ci_u32_e64 v3, null, s27, 0, s1
	v_add_lshl_u32 v9, v42, s10, 2
	v_mov_b32_e32 v10, v8
	s_add_u32 s27, s10, s8
	v_cmp_gt_i64_e32 vcc_lo, s[36:37], v[2:3]
	s_mov_b32 s8, 0
                                        ; implicit-def: $sgpr10
                                        ; implicit-def: $sgpr30
                                        ; implicit-def: $sgpr29
	s_branch .LBB6_62
.LBB6_60:                               ;   in Loop: Header=BB6_62 Depth=2
	s_set_inst_prefetch_distance 0x2
	s_or_b32 exec_lo, exec_lo, s33
	v_add_co_u32 v0, s1, v0, s44
	s_delay_alu instid0(VALU_DEP_1) | instskip(SKIP_3) | instid1(VALU_DEP_2)
	v_add_co_ci_u32_e64 v1, s1, 0, v1, s1
	v_subrev_nc_u32_e32 v10, s44, v10
	s_and_not1_b32 s30, s30, exec_lo
	s_and_not1_b32 s29, s29, exec_lo
	v_cmp_le_i64_e64 s1, s[36:37], v[0:1]
	s_delay_alu instid0(VALU_DEP_1) | instskip(NEXT) | instid1(SALU_CYCLE_1)
	s_and_b32 s1, s1, exec_lo
	s_or_b32 s30, s30, s1
.LBB6_61:                               ;   in Loop: Header=BB6_62 Depth=2
	s_or_b32 exec_lo, exec_lo, s31
	s_xor_b32 s1, s29, -1
	s_and_b32 s31, exec_lo, s30
	s_delay_alu instid0(SALU_CYCLE_1) | instskip(SKIP_2) | instid1(SALU_CYCLE_1)
	s_or_b32 s8, s31, s8
	s_and_not1_b32 s10, s10, exec_lo
	s_and_b32 s1, s1, exec_lo
	s_or_b32 s10, s10, s1
	s_and_not1_b32 exec_lo, exec_lo, s8
	s_cbranch_execz .LBB6_68
.LBB6_62:                               ;   Parent Loop BB6_42 Depth=1
                                        ; =>  This Loop Header: Depth=2
                                        ;       Child Loop BB6_66 Depth 3
	s_or_b32 s29, s29, exec_lo
	s_or_b32 s30, s30, exec_lo
	s_mov_b32 s31, exec_lo
	v_cmpx_le_u64_e64 s[6:7], v[0:1]
	s_cbranch_execz .LBB6_61
; %bb.63:                               ;   in Loop: Header=BB6_62 Depth=2
	s_and_saveexec_b32 s33, vcc_lo
	s_cbranch_execz .LBB6_60
; %bb.64:                               ;   in Loop: Header=BB6_62 Depth=2
	s_waitcnt lgkmcnt(0)
	v_sub_co_u32 v11, s1, s4, v0
	s_delay_alu instid0(VALU_DEP_1) | instskip(SKIP_1) | instid1(VALU_DEP_2)
	v_sub_co_ci_u32_e64 v4, s1, s5, v1, s1
	s_mov_b32 s48, 0
	v_mul_lo_u32 v13, v11, v1
	s_mov_b32 s49, 0
	s_delay_alu instid0(VALU_DEP_2) | instskip(SKIP_2) | instid1(VALU_DEP_2)
	v_mul_lo_u32 v12, v4, v0
	v_mad_u64_u32 v[4:5], null, v11, v0, 0
	v_add_nc_u32_e32 v11, s27, v0
	v_add3_u32 v5, v5, v13, v12
	s_delay_alu instid0(VALU_DEP_1) | instskip(NEXT) | instid1(VALU_DEP_1)
	v_lshrrev_b32_e32 v5, 31, v5
	v_add_nc_u32_e32 v4, v4, v5
	s_delay_alu instid0(VALU_DEP_1) | instskip(NEXT) | instid1(VALU_DEP_1)
	v_lshrrev_b32_e32 v4, 1, v4
	v_add_lshl_u32 v12, v10, v4, 2
	v_dual_mov_b32 v5, v3 :: v_dual_mov_b32 v4, v2
	v_lshl_add_u32 v11, v11, 2, 0
	ds_load_b32 v11, v11
	s_set_inst_prefetch_distance 0x1
	s_branch .LBB6_66
	.p2align	6
.LBB6_65:                               ;   in Loop: Header=BB6_66 Depth=3
	s_or_b32 exec_lo, exec_lo, s50
	v_add_co_u32 v4, s1, v4, s34
	s_delay_alu instid0(VALU_DEP_1) | instskip(SKIP_1) | instid1(VALU_DEP_1)
	v_add_co_ci_u32_e64 v5, s1, 0, v5, s1
	s_add_i32 s49, s49, s16
	v_cmp_le_i64_e64 s1, s[36:37], v[4:5]
	s_delay_alu instid0(VALU_DEP_1) | instskip(NEXT) | instid1(SALU_CYCLE_1)
	s_or_b32 s48, s1, s48
	s_and_not1_b32 exec_lo, exec_lo, s48
	s_cbranch_execz .LBB6_60
.LBB6_66:                               ;   Parent Loop BB6_42 Depth=1
                                        ;     Parent Loop BB6_62 Depth=2
                                        ; =>    This Inner Loop Header: Depth=3
	s_mov_b32 s50, exec_lo
	v_cmpx_ge_u64_e64 v[4:5], v[0:1]
	s_cbranch_execz .LBB6_65
; %bb.67:                               ;   in Loop: Header=BB6_66 Depth=3
	v_add_nc_u32_e32 v13, s49, v9
	v_add_nc_u32_e32 v14, s49, v12
	ds_load_b32 v13, v13 offset:4
	ds_load_b32 v15, v14
	s_waitcnt lgkmcnt(0)
	v_fma_f32 v13, -v11, v13, v15
	ds_store_b32 v14, v13
	s_branch .LBB6_65
.LBB6_68:                               ;   in Loop: Header=BB6_42 Depth=1
	s_or_b32 exec_lo, exec_lo, s8
	s_mov_b32 s29, 0
	s_mov_b32 s30, -1
	s_or_not1_b32 s31, s10, exec_lo
.LBB6_69:                               ;   in Loop: Header=BB6_42 Depth=1
	s_or_b32 exec_lo, exec_lo, s26
	s_mov_b32 s1, s18
	s_and_saveexec_b32 s8, s31
	s_cbranch_execz .LBB6_71
; %bb.70:                               ;   in Loop: Header=BB6_42 Depth=1
	s_or_b32 s1, s18, exec_lo
	s_waitcnt lgkmcnt(0)
	s_barrier
	buffer_gl0_inv
                                        ; implicit-def: $sgpr30
                                        ; implicit-def: $sgpr29
.LBB6_71:                               ;   in Loop: Header=BB6_42 Depth=1
	s_or_b32 exec_lo, exec_lo, s8
	s_delay_alu instid0(SALU_CYCLE_1)
	s_and_not1_b32 s8, s19, exec_lo
	s_and_b32 s10, s30, exec_lo
	s_and_not1_b32 s18, s18, exec_lo
	s_or_b32 s19, s8, s10
	s_and_not1_b32 s8, s20, exec_lo
	s_and_b32 s10, s29, exec_lo
	s_and_b32 s1, s1, exec_lo
	s_or_b32 s20, s8, s10
	s_or_b32 s18, s18, s1
.LBB6_72:                               ;   in Loop: Header=BB6_42 Depth=1
	s_or_b32 exec_lo, exec_lo, s9
	s_mov_b32 s10, -1
                                        ; implicit-def: $sgpr8_sgpr9
	s_and_saveexec_b32 s1, s18
	s_delay_alu instid0(SALU_CYCLE_1)
	s_xor_b32 s1, exec_lo, s1
	s_cbranch_execz .LBB6_41
.LBB6_73:                               ;   in Loop: Header=BB6_42 Depth=1
	s_and_b32 vcc_lo, exec_lo, s11
                                        ; implicit-def: $sgpr8_sgpr9
	s_cbranch_vccz .LBB6_40
; %bb.74:                               ;   in Loop: Header=BB6_42 Depth=1
	s_add_u32 s26, s6, 1
	s_addc_u32 s27, s7, 0
	s_not_b64 s[8:9], s[6:7]
	s_cmp_eq_u64 s[26:27], s[36:37]
	s_mov_b64 s[6:7], s[26:27]
	s_cselect_b32 s10, -1, 0
	s_branch .LBB6_40
.LBB6_75:
	s_or_b32 exec_lo, exec_lo, s13
	s_mov_b32 s0, 0
	s_mov_b32 s26, -1
	s_mov_b32 s27, 0
	s_and_saveexec_b32 s1, s17
	s_delay_alu instid0(SALU_CYCLE_1)
	s_xor_b32 s1, exec_lo, s1
; %bb.76:
	s_mov_b32 s27, exec_lo
	s_xor_b32 s26, exec_lo, -1
	s_and_b32 s0, s14, exec_lo
; %bb.77:
	s_or_b32 exec_lo, exec_lo, s1
	s_mov_b32 s48, s35
	s_and_saveexec_b32 s29, s0
	s_cbranch_execnz .LBB6_81
.LBB6_78:
	s_or_b32 exec_lo, exec_lo, s29
	s_and_saveexec_b32 s0, s27
	s_delay_alu instid0(SALU_CYCLE_1)
	s_xor_b32 s21, exec_lo, s0
	s_cbranch_execz .LBB6_116
.LBB6_79:
	s_add_u32 s8, s22, 56
	s_addc_u32 s9, s23, 0
	s_getpc_b64 s[0:1]
	s_add_u32 s0, s0, .str.8@rel32@lo+4
	s_addc_u32 s1, s1, .str.8@rel32@hi+12
	s_getpc_b64 s[2:3]
	s_add_u32 s2, s2, __PRETTY_FUNCTION__._ZN9rocsolver6v33100L9idx_lowerIlEET_S2_S2_S2_@rel32@lo+4
	s_addc_u32 s3, s3, __PRETTY_FUNCTION__._ZN9rocsolver6v33100L9idx_lowerIlEET_S2_S2_S2_@rel32@hi+12
	v_dual_mov_b32 v0, s0 :: v_dual_mov_b32 v1, s1
	v_dual_mov_b32 v2, 0x51 :: v_dual_mov_b32 v3, s2
	v_mov_b32_e32 v4, s3
	s_getpc_b64 s[4:5]
	s_add_u32 s4, s4, __assert_fail@rel32@lo+4
	s_addc_u32 s5, s5, __assert_fail@rel32@hi+12
	s_delay_alu instid0(SALU_CYCLE_1) | instskip(SKIP_3) | instid1(SALU_CYCLE_1)
	s_swappc_b64 s[30:31], s[4:5]
	s_or_b32 s48, s48, exec_lo
	s_or_b32 exec_lo, exec_lo, s21
	s_and_saveexec_b32 s0, s26
	s_xor_b32 s21, exec_lo, s0
	s_cbranch_execnz .LBB6_117
	s_branch .LBB6_118
.LBB6_80:
	s_mov_b32 s0, -1
	s_mov_b32 s27, 0
	s_mov_b32 s26, 0
	;; [unrolled: 1-line block ×3, first 2 shown]
	s_and_saveexec_b32 s29, s0
	s_cbranch_execz .LBB6_78
.LBB6_81:
	s_mov_b32 s1, -1
	s_mov_b32 s48, 0
	s_and_b32 vcc_lo, exec_lo, s47
	s_mov_b32 s0, 0
	s_mov_b32 s47, s35
	s_waitcnt lgkmcnt(0)
	s_waitcnt_vscnt null, 0x0
	s_barrier
	buffer_gl0_inv
	s_cbranch_vccz .LBB6_93
; %bb.82:
	s_mov_b32 s0, -1
	s_mov_b32 s47, s35
	s_and_saveexec_b32 s49, s21
	s_cbranch_execz .LBB6_108
; %bb.83:
	v_mad_u64_u32 v[0:1], null, s42, v44, 0
	s_mul_i32 s0, s25, s28
	s_mul_hi_u32 s5, s24, s28
	s_mul_i32 s4, s24, s28
	s_add_i32 s5, s5, s0
	s_lshl_b64 s[2:3], s[36:37], 1
	s_lshl_b64 s[6:7], s[40:41], 2
	s_delay_alu instid0(VALU_DEP_1)
	v_mad_u64_u32 v[2:3], null, s43, v44, v[1:2]
	s_lshl_b64 s[4:5], s[4:5], 2
	s_or_b32 s2, s2, 1
	s_add_u32 s0, s6, s4
	s_addc_u32 s6, s7, s5
	s_lshl_b64 s[4:5], s[42:43], 2
	s_mov_b32 s1, 0
	s_delay_alu instid0(VALU_DEP_1)
	v_mov_b32_e32 v1, v2
	v_add_lshl_u32 v2, v44, v42, 2
	s_add_u32 s4, s4, 4
	s_addc_u32 s5, s5, 0
	s_lshl_b32 s7, s34, 2
	v_lshlrev_b64 v[0:1], 2, v[0:1]
	s_mul_i32 s5, s5, s44
                                        ; implicit-def: $sgpr8
	s_delay_alu instid0(VALU_DEP_1) | instskip(NEXT) | instid1(VALU_DEP_2)
	v_add_co_u32 v0, vcc_lo, s0, v0
	v_add_co_ci_u32_e32 v1, vcc_lo, s6, v1, vcc_lo
	s_mul_hi_u32 s0, s4, s44
	s_delay_alu instid0(VALU_DEP_2) | instskip(SKIP_1) | instid1(VALU_DEP_3)
	v_add_co_u32 v0, vcc_lo, v0, v2
	v_mov_b32_e32 v2, v44
	v_add_co_ci_u32_e32 v1, vcc_lo, 0, v1, vcc_lo
	s_delay_alu instid0(VALU_DEP_3) | instskip(SKIP_1) | instid1(VALU_DEP_3)
	v_add_co_u32 v0, vcc_lo, s38, v0
	v_mov_b32_e32 v3, v45
	v_add_co_ci_u32_e32 v1, vcc_lo, s39, v1, vcc_lo
	s_add_i32 s5, s0, s5
	s_mul_i32 s6, s4, s44
                                        ; implicit-def: $sgpr4
	s_branch .LBB6_85
.LBB6_84:                               ;   in Loop: Header=BB6_85 Depth=1
	s_or_b32 exec_lo, exec_lo, s9
	s_delay_alu instid0(SALU_CYCLE_1) | instskip(NEXT) | instid1(SALU_CYCLE_1)
	s_and_b32 s0, exec_lo, s10
	s_or_b32 s1, s0, s1
	s_and_not1_b32 s0, s4, exec_lo
	s_and_b32 s4, s8, exec_lo
	s_delay_alu instid0(SALU_CYCLE_1)
	s_or_b32 s4, s0, s4
	s_and_not1_b32 exec_lo, exec_lo, s1
	s_cbranch_execz .LBB6_105
.LBB6_85:                               ; =>This Loop Header: Depth=1
                                        ;     Child Loop BB6_88 Depth 2
	v_add_co_u32 v4, vcc_lo, v2, v42
	v_add_co_ci_u32_e32 v5, vcc_lo, 0, v3, vcc_lo
	s_mov_b32 s0, -1
	s_mov_b32 s9, exec_lo
                                        ; implicit-def: $sgpr10
	s_delay_alu instid0(VALU_DEP_1)
	v_cmpx_gt_i64_e64 s[36:37], v[4:5]
	s_cbranch_execz .LBB6_91
; %bb.86:                               ;   in Loop: Header=BB6_85 Depth=1
	v_sub_co_u32 v8, vcc_lo, s2, v2
	v_sub_co_ci_u32_e32 v6, vcc_lo, s3, v3, vcc_lo
	s_mov_b32 s10, 0
	s_delay_alu instid0(VALU_DEP_2) | instskip(NEXT) | instid1(VALU_DEP_2)
	v_mul_lo_u32 v10, v8, v3
                                        ; implicit-def: $sgpr11
                                        ; implicit-def: $sgpr13
                                        ; implicit-def: $sgpr12
	v_mul_lo_u32 v9, v6, v2
	v_mad_u64_u32 v[6:7], null, v8, v2, 0
	s_delay_alu instid0(VALU_DEP_1) | instskip(NEXT) | instid1(VALU_DEP_1)
	v_add3_u32 v7, v7, v10, v9
	v_lshrrev_b32_e32 v7, 31, v7
	s_delay_alu instid0(VALU_DEP_1) | instskip(NEXT) | instid1(VALU_DEP_1)
	v_add_nc_u32_e32 v6, v6, v7
	v_lshrrev_b32_e32 v6, 1, v6
	s_delay_alu instid0(VALU_DEP_1) | instskip(NEXT) | instid1(VALU_DEP_1)
	v_add_nc_u32_e32 v6, v42, v6
	v_lshl_add_u32 v8, v6, 2, 0
	v_dual_mov_b32 v7, v1 :: v_dual_mov_b32 v6, v0
	s_set_inst_prefetch_distance 0x1
	s_branch .LBB6_88
	.p2align	6
.LBB6_87:                               ;   in Loop: Header=BB6_88 Depth=2
	s_or_b32 exec_lo, exec_lo, s14
	s_xor_b32 s0, s12, -1
	s_and_b32 s14, exec_lo, s13
	s_delay_alu instid0(SALU_CYCLE_1) | instskip(SKIP_2) | instid1(SALU_CYCLE_1)
	s_or_b32 s10, s14, s10
	s_and_not1_b32 s11, s11, exec_lo
	s_and_b32 s0, s0, exec_lo
	s_or_b32 s11, s11, s0
	s_and_not1_b32 exec_lo, exec_lo, s10
	s_cbranch_execz .LBB6_90
.LBB6_88:                               ;   Parent Loop BB6_85 Depth=1
                                        ; =>  This Inner Loop Header: Depth=2
	s_or_b32 s12, s12, exec_lo
	s_or_b32 s13, s13, exec_lo
	s_mov_b32 s14, exec_lo
	v_cmpx_ge_u64_e64 v[4:5], v[2:3]
	s_cbranch_execz .LBB6_87
; %bb.89:                               ;   in Loop: Header=BB6_88 Depth=2
	ds_load_b32 v9, v8
	v_add_co_u32 v4, vcc_lo, v4, s34
	v_add_co_ci_u32_e32 v5, vcc_lo, 0, v5, vcc_lo
	v_add_nc_u32_e32 v8, s7, v8
	s_and_not1_b32 s12, s12, exec_lo
	s_delay_alu instid0(VALU_DEP_2) | instskip(SKIP_3) | instid1(VALU_DEP_1)
	v_cmp_le_i64_e32 vcc_lo, s[36:37], v[4:5]
	s_waitcnt lgkmcnt(0)
	global_store_b32 v[6:7], v9, off
	v_add_co_u32 v6, s0, v6, s7
	v_add_co_ci_u32_e64 v7, s0, 0, v7, s0
	s_and_not1_b32 s0, s13, exec_lo
	s_and_b32 s13, vcc_lo, exec_lo
	s_delay_alu instid0(SALU_CYCLE_1)
	s_or_b32 s13, s0, s13
	s_branch .LBB6_87
.LBB6_90:                               ;   in Loop: Header=BB6_85 Depth=1
	s_set_inst_prefetch_distance 0x2
	s_or_b32 exec_lo, exec_lo, s10
	s_mov_b32 s10, -1
	s_or_not1_b32 s0, s11, exec_lo
.LBB6_91:                               ;   in Loop: Header=BB6_85 Depth=1
	s_or_b32 exec_lo, exec_lo, s9
	s_delay_alu instid0(SALU_CYCLE_1)
	s_and_not1_b32 s8, s8, exec_lo
	s_and_b32 s9, s10, exec_lo
	s_mov_b32 s10, -1
	s_or_b32 s8, s8, s9
	s_and_saveexec_b32 s9, s0
	s_cbranch_execz .LBB6_84
; %bb.92:                               ;   in Loop: Header=BB6_85 Depth=1
	v_add_co_u32 v2, vcc_lo, v2, s44
	v_add_co_ci_u32_e32 v3, vcc_lo, 0, v3, vcc_lo
	v_add_co_u32 v0, s0, v0, s6
	s_delay_alu instid0(VALU_DEP_1) | instskip(NEXT) | instid1(VALU_DEP_3)
	v_add_co_ci_u32_e64 v1, s0, s5, v1, s0
	v_cmp_le_i64_e32 vcc_lo, s[36:37], v[2:3]
	s_and_not1_b32 s8, s8, exec_lo
	s_or_not1_b32 s10, vcc_lo, exec_lo
	s_branch .LBB6_84
.LBB6_93:
	s_and_b32 vcc_lo, exec_lo, s1
	s_cbranch_vccz .LBB6_109
; %bb.94:
	s_mov_b32 s0, -1
	s_mov_b32 s48, 0
	s_and_saveexec_b32 s1, s21
	s_cbranch_execz .LBB6_112
; %bb.95:
	v_mad_u64_u32 v[0:1], null, s42, v44, 0
	s_mul_i32 s0, s25, s28
	s_mul_hi_u32 s5, s24, s28
	s_lshl_b64 s[2:3], s[36:37], 1
	s_mul_i32 s4, s24, s28
	s_add_i32 s5, s5, s0
	s_lshl_b64 s[6:7], s[40:41], 2
	s_delay_alu instid0(VALU_DEP_1)
	v_mad_u64_u32 v[2:3], null, s43, v44, v[1:2]
	s_lshl_b64 s[4:5], s[4:5], 2
	v_lshlrev_b32_e32 v3, 2, v42
	s_mul_i32 s8, s43, s44
	s_mul_hi_u32 s0, s42, s44
	v_mov_b32_e32 v43, 0
	v_sub_nc_u32_e32 v10, v44, v42
	s_delay_alu instid0(VALU_DEP_4) | instskip(SKIP_1) | instid1(VALU_DEP_1)
	v_mov_b32_e32 v1, v2
	v_sub_co_u32 v2, s2, s2, v42
	v_sub_co_ci_u32_e64 v4, null, s3, 0, s2
	s_delay_alu instid0(VALU_DEP_3) | instskip(SKIP_4) | instid1(VALU_DEP_1)
	v_lshlrev_b64 v[0:1], 2, v[0:1]
	s_add_u32 s2, s6, s4
	s_addc_u32 s3, s7, s5
	s_mov_b32 s4, 0
	s_lshl_b32 s5, s34, 2
                                        ; implicit-def: $sgpr6
	v_add_co_u32 v5, vcc_lo, s2, v0
	v_add_co_ci_u32_e32 v6, vcc_lo, s3, v1, vcc_lo
	v_add_co_u32 v0, vcc_lo, v2, 1
	v_add_co_ci_u32_e32 v1, vcc_lo, 0, v4, vcc_lo
	s_delay_alu instid0(VALU_DEP_4) | instskip(NEXT) | instid1(VALU_DEP_4)
	v_add_co_u32 v2, vcc_lo, v5, v3
	v_add_co_ci_u32_e32 v3, vcc_lo, 0, v6, vcc_lo
	s_add_i32 s3, s0, s8
	s_delay_alu instid0(VALU_DEP_2) | instskip(NEXT) | instid1(VALU_DEP_2)
	v_add_co_u32 v2, vcc_lo, s38, v2
	v_add_co_ci_u32_e32 v3, vcc_lo, s39, v3, vcc_lo
	s_mul_i32 s2, s42, s44
	s_delay_alu instid0(SALU_CYCLE_1)
	s_lshl_b64 s[2:3], s[2:3], 2
	s_branch .LBB6_97
.LBB6_96:                               ;   in Loop: Header=BB6_97 Depth=1
	s_or_b32 exec_lo, exec_lo, s7
	s_xor_b32 s7, s8, -1
	s_and_b32 s0, exec_lo, s0
	s_delay_alu instid0(SALU_CYCLE_1) | instskip(SKIP_2) | instid1(SALU_CYCLE_1)
	s_or_b32 s4, s0, s4
	s_and_not1_b32 s0, s6, exec_lo
	s_and_b32 s6, s7, exec_lo
	s_or_b32 s6, s0, s6
	s_and_not1_b32 exec_lo, exec_lo, s4
	s_cbranch_execz .LBB6_111
.LBB6_97:                               ; =>This Loop Header: Depth=1
                                        ;     Child Loop BB6_100 Depth 2
	s_mov_b32 s9, -1
	s_mov_b32 s7, exec_lo
                                        ; implicit-def: $sgpr8
	v_cmpx_ge_u64_e64 v[44:45], v[42:43]
	s_cbranch_execz .LBB6_103
; %bb.98:                               ;   in Loop: Header=BB6_97 Depth=1
	v_dual_mov_b32 v7, v1 :: v_dual_mov_b32 v8, v42
	v_dual_mov_b32 v5, v3 :: v_dual_mov_b32 v4, v2
	;; [unrolled: 1-line block ×3, first 2 shown]
	v_mov_b32_e32 v9, v43
	s_mov_b32 s8, 0
                                        ; implicit-def: $sgpr9
                                        ; implicit-def: $sgpr11
                                        ; implicit-def: $sgpr10
	s_branch .LBB6_100
.LBB6_99:                               ;   in Loop: Header=BB6_100 Depth=2
	s_or_b32 exec_lo, exec_lo, s12
	s_xor_b32 s0, s10, -1
	s_and_b32 s12, exec_lo, s11
	s_delay_alu instid0(SALU_CYCLE_1) | instskip(SKIP_2) | instid1(SALU_CYCLE_1)
	s_or_b32 s8, s12, s8
	s_and_not1_b32 s9, s9, exec_lo
	s_and_b32 s0, s0, exec_lo
	s_or_b32 s9, s9, s0
	s_and_not1_b32 exec_lo, exec_lo, s8
	s_cbranch_execz .LBB6_102
.LBB6_100:                              ;   Parent Loop BB6_97 Depth=1
                                        ; =>  This Inner Loop Header: Depth=2
	s_or_b32 s10, s10, exec_lo
	s_or_b32 s11, s11, exec_lo
	s_mov_b32 s12, exec_lo
	v_cmpx_gt_i64_e64 s[36:37], v[8:9]
	s_cbranch_execz .LBB6_99
; %bb.101:                              ;   in Loop: Header=BB6_100 Depth=2
	v_mul_lo_u32 v14, v7, v8
	v_mul_lo_u32 v15, v6, v9
	v_mad_u64_u32 v[12:13], null, v6, v8, 0
	v_add_co_u32 v8, vcc_lo, v8, s34
	v_add_co_ci_u32_e32 v9, vcc_lo, 0, v9, vcc_lo
	v_sub_co_u32 v6, vcc_lo, v6, s34
	s_delay_alu instid0(VALU_DEP_4) | instskip(SKIP_1) | instid1(VALU_DEP_4)
	v_add3_u32 v13, v13, v15, v14
	v_subrev_co_ci_u32_e32 v7, vcc_lo, 0, v7, vcc_lo
	v_cmp_gt_u64_e32 vcc_lo, v[8:9], v[44:45]
	s_and_not1_b32 s10, s10, exec_lo
	s_delay_alu instid0(VALU_DEP_3) | instskip(NEXT) | instid1(VALU_DEP_1)
	v_lshrrev_b32_e32 v13, 31, v13
	v_add_nc_u32_e32 v12, v12, v13
	s_delay_alu instid0(VALU_DEP_1) | instskip(NEXT) | instid1(VALU_DEP_1)
	v_lshrrev_b32_e32 v12, 1, v12
	v_add_nc_u32_e32 v12, v11, v12
	v_subrev_nc_u32_e32 v11, s34, v11
	s_delay_alu instid0(VALU_DEP_2) | instskip(SKIP_4) | instid1(VALU_DEP_1)
	v_lshl_add_u32 v12, v12, 2, 0
	ds_load_b32 v12, v12
	s_waitcnt lgkmcnt(0)
	global_store_b32 v[4:5], v12, off
	v_add_co_u32 v4, s0, v4, s5
	v_add_co_ci_u32_e64 v5, s0, 0, v5, s0
	s_and_not1_b32 s0, s11, exec_lo
	s_and_b32 s11, vcc_lo, exec_lo
	s_delay_alu instid0(SALU_CYCLE_1)
	s_or_b32 s11, s0, s11
	s_branch .LBB6_99
.LBB6_102:                              ;   in Loop: Header=BB6_97 Depth=1
	s_or_b32 exec_lo, exec_lo, s8
	s_mov_b32 s8, -1
	s_or_not1_b32 s9, s9, exec_lo
.LBB6_103:                              ;   in Loop: Header=BB6_97 Depth=1
	s_or_b32 exec_lo, exec_lo, s7
	s_mov_b32 s0, -1
	s_and_saveexec_b32 s7, s9
	s_cbranch_execz .LBB6_96
; %bb.104:                              ;   in Loop: Header=BB6_97 Depth=1
	v_add_co_u32 v44, vcc_lo, v44, s44
	v_add_co_ci_u32_e32 v45, vcc_lo, 0, v45, vcc_lo
	v_add_co_u32 v2, s0, v2, s2
	v_add_nc_u32_e32 v10, s44, v10
	s_delay_alu instid0(VALU_DEP_3)
	v_cmp_le_i64_e32 vcc_lo, s[36:37], v[44:45]
	v_add_co_ci_u32_e64 v3, s0, s3, v3, s0
	s_and_not1_b32 s8, s8, exec_lo
	s_or_not1_b32 s0, vcc_lo, exec_lo
	s_branch .LBB6_96
.LBB6_105:
	s_or_b32 exec_lo, exec_lo, s1
	s_mov_b32 s0, -1
	s_mov_b32 s1, s35
	s_and_saveexec_b32 s2, s4
	s_delay_alu instid0(SALU_CYCLE_1)
	s_xor_b32 s47, exec_lo, s2
	s_cbranch_execz .LBB6_107
; %bb.106:
	s_add_u32 s8, s22, 56
	s_addc_u32 s9, s23, 0
	s_getpc_b64 s[0:1]
	s_add_u32 s0, s0, .str.8@rel32@lo+4
	s_addc_u32 s1, s1, .str.8@rel32@hi+12
	s_getpc_b64 s[2:3]
	s_add_u32 s2, s2, __PRETTY_FUNCTION__._ZN9rocsolver6v33100L9idx_lowerIlEET_S2_S2_S2_@rel32@lo+4
	s_addc_u32 s3, s3, __PRETTY_FUNCTION__._ZN9rocsolver6v33100L9idx_lowerIlEET_S2_S2_S2_@rel32@hi+12
	v_dual_mov_b32 v0, s0 :: v_dual_mov_b32 v1, s1
	v_dual_mov_b32 v2, 0x51 :: v_dual_mov_b32 v3, s2
	v_mov_b32_e32 v4, s3
	s_getpc_b64 s[4:5]
	s_add_u32 s4, s4, __assert_fail@rel32@lo+4
	s_addc_u32 s5, s5, __assert_fail@rel32@hi+12
	s_delay_alu instid0(SALU_CYCLE_1)
	s_swappc_b64 s[30:31], s[4:5]
	s_or_b32 s1, s35, exec_lo
	s_xor_b32 s0, exec_lo, -1
.LBB6_107:
	s_or_b32 exec_lo, exec_lo, s47
	s_delay_alu instid0(SALU_CYCLE_1)
	s_and_not1_b32 s2, s35, exec_lo
	s_and_b32 s1, s1, exec_lo
	s_or_not1_b32 s0, s0, exec_lo
	s_or_b32 s47, s2, s1
.LBB6_108:
	s_or_b32 exec_lo, exec_lo, s49
.LBB6_109:
	s_and_saveexec_b32 s1, s0
	s_cbranch_execz .LBB6_113
.LBB6_110:
	s_waitcnt_vscnt null, 0x0
	s_barrier
	s_and_not1_b32 s48, s48, exec_lo
	buffer_gl0_inv
	s_or_b32 exec_lo, exec_lo, s1
	s_and_saveexec_b32 s0, s48
	s_delay_alu instid0(SALU_CYCLE_1)
	s_xor_b32 s21, exec_lo, s0
	s_cbranch_execnz .LBB6_114
	s_branch .LBB6_115
.LBB6_111:
	s_or_b32 exec_lo, exec_lo, s4
	s_delay_alu instid0(SALU_CYCLE_1)
	s_mov_b32 s48, exec_lo
	s_or_not1_b32 s0, s6, exec_lo
.LBB6_112:
	s_or_b32 exec_lo, exec_lo, s1
	s_and_saveexec_b32 s1, s0
	s_cbranch_execnz .LBB6_110
.LBB6_113:
	s_or_b32 exec_lo, exec_lo, s1
	s_and_saveexec_b32 s0, s48
	s_delay_alu instid0(SALU_CYCLE_1)
	s_xor_b32 s21, exec_lo, s0
	s_cbranch_execz .LBB6_115
.LBB6_114:
	s_add_u32 s8, s22, 56
	s_addc_u32 s9, s23, 0
	s_getpc_b64 s[0:1]
	s_add_u32 s0, s0, .str.7@rel32@lo+4
	s_addc_u32 s1, s1, .str.7@rel32@hi+12
	s_getpc_b64 s[2:3]
	s_add_u32 s2, s2, __PRETTY_FUNCTION__._ZN9rocsolver6v33100L9idx_lowerIlEET_S2_S2_S2_@rel32@lo+4
	s_addc_u32 s3, s3, __PRETTY_FUNCTION__._ZN9rocsolver6v33100L9idx_lowerIlEET_S2_S2_S2_@rel32@hi+12
	v_dual_mov_b32 v0, s0 :: v_dual_mov_b32 v1, s1
	v_dual_mov_b32 v2, 0x50 :: v_dual_mov_b32 v3, s2
	v_mov_b32_e32 v4, s3
	s_getpc_b64 s[4:5]
	s_add_u32 s4, s4, __assert_fail@rel32@lo+4
	s_addc_u32 s5, s5, __assert_fail@rel32@hi+12
	s_delay_alu instid0(SALU_CYCLE_1)
	s_swappc_b64 s[30:31], s[4:5]
	s_or_b32 s47, s47, exec_lo
.LBB6_115:
	s_or_b32 exec_lo, exec_lo, s21
	s_delay_alu instid0(SALU_CYCLE_1)
	s_and_not1_b32 s0, s35, exec_lo
	s_and_b32 s1, s47, exec_lo
	s_and_not1_b32 s27, s27, exec_lo
	s_or_b32 s48, s0, s1
	s_or_b32 exec_lo, exec_lo, s29
	s_and_saveexec_b32 s0, s27
	s_delay_alu instid0(SALU_CYCLE_1)
	s_xor_b32 s21, exec_lo, s0
	s_cbranch_execnz .LBB6_79
.LBB6_116:
	s_or_b32 exec_lo, exec_lo, s21
	s_and_saveexec_b32 s0, s26
	s_delay_alu instid0(SALU_CYCLE_1)
	s_xor_b32 s21, exec_lo, s0
	s_cbranch_execz .LBB6_118
.LBB6_117:
	s_add_u32 s8, s22, 56
	s_addc_u32 s9, s23, 0
	s_getpc_b64 s[0:1]
	s_add_u32 s0, s0, .str.8@rel32@lo+4
	s_addc_u32 s1, s1, .str.8@rel32@hi+12
	s_getpc_b64 s[2:3]
	s_add_u32 s2, s2, __PRETTY_FUNCTION__._ZN9rocsolver6v33100L9idx_lowerIlEET_S2_S2_S2_@rel32@lo+4
	s_addc_u32 s3, s3, __PRETTY_FUNCTION__._ZN9rocsolver6v33100L9idx_lowerIlEET_S2_S2_S2_@rel32@hi+12
	v_dual_mov_b32 v0, s0 :: v_dual_mov_b32 v1, s1
	v_dual_mov_b32 v2, 0x51 :: v_dual_mov_b32 v3, s2
	v_mov_b32_e32 v4, s3
	s_getpc_b64 s[4:5]
	s_add_u32 s4, s4, __assert_fail@rel32@lo+4
	s_addc_u32 s5, s5, __assert_fail@rel32@hi+12
	s_delay_alu instid0(SALU_CYCLE_1)
	s_swappc_b64 s[30:31], s[4:5]
	s_or_b32 s48, s48, exec_lo
.LBB6_118:
	s_or_b32 exec_lo, exec_lo, s21
	s_delay_alu instid0(SALU_CYCLE_1)
	s_and_not1_b32 s0, s35, exec_lo
	s_and_b32 s1, s48, exec_lo
	s_and_not1_b32 s45, s45, exec_lo
	s_or_b32 s35, s0, s1
.LBB6_119:
	s_or_b32 exec_lo, exec_lo, s46
	s_and_saveexec_b32 s0, s45
	s_delay_alu instid0(SALU_CYCLE_1)
	s_xor_b32 s21, exec_lo, s0
	s_cbranch_execz .LBB6_121
; %bb.120:
	s_add_u32 s8, s22, 56
	s_addc_u32 s9, s23, 0
	s_getpc_b64 s[0:1]
	s_add_u32 s0, s0, .str.7@rel32@lo+4
	s_addc_u32 s1, s1, .str.7@rel32@hi+12
	s_getpc_b64 s[2:3]
	s_add_u32 s2, s2, __PRETTY_FUNCTION__._ZN9rocsolver6v33100L9idx_lowerIlEET_S2_S2_S2_@rel32@lo+4
	s_addc_u32 s3, s3, __PRETTY_FUNCTION__._ZN9rocsolver6v33100L9idx_lowerIlEET_S2_S2_S2_@rel32@hi+12
	v_dual_mov_b32 v0, s0 :: v_dual_mov_b32 v1, s1
	v_dual_mov_b32 v2, 0x50 :: v_dual_mov_b32 v3, s2
	v_mov_b32_e32 v4, s3
	s_getpc_b64 s[4:5]
	s_add_u32 s4, s4, __assert_fail@rel32@lo+4
	s_addc_u32 s5, s5, __assert_fail@rel32@hi+12
	s_delay_alu instid0(SALU_CYCLE_1)
	s_swappc_b64 s[30:31], s[4:5]
	s_or_b32 s35, s35, exec_lo
.LBB6_121:
	s_or_b32 exec_lo, exec_lo, s21
	s_branch .LBB6_123
.LBB6_122:
	s_add_u32 s8, s22, 56
	s_addc_u32 s9, s23, 0
	s_getpc_b64 s[0:1]
	s_add_u32 s0, s0, .str.3@rel32@lo+4
	s_addc_u32 s1, s1, .str.3@rel32@hi+12
	s_getpc_b64 s[2:3]
	s_add_u32 s2, s2, __PRETTY_FUNCTION__._ZN9rocsolver6v33100L18potf2_kernel_smallIfliPfEEvbT0_T2_lS3_lPT1_@rel32@lo+4
	s_addc_u32 s3, s3, __PRETTY_FUNCTION__._ZN9rocsolver6v33100L18potf2_kernel_smallIfliPfEEvbT0_T2_lS3_lPT1_@rel32@hi+12
	v_dual_mov_b32 v0, s0 :: v_dual_mov_b32 v1, s1
	v_dual_mov_b32 v2, 0x12c :: v_dual_mov_b32 v3, s2
	v_mov_b32_e32 v4, s3
	s_getpc_b64 s[4:5]
	s_add_u32 s4, s4, __assert_fail@rel32@lo+4
	s_addc_u32 s5, s5, __assert_fail@rel32@hi+12
	s_delay_alu instid0(SALU_CYCLE_1)
	s_swappc_b64 s[30:31], s[4:5]
	s_or_b32 s35, s35, exec_lo
.LBB6_123:
	s_branch .LBB6_125
.LBB6_124:
	s_add_u32 s8, s22, 56
	s_addc_u32 s9, s23, 0
	s_getpc_b64 s[0:1]
	s_add_u32 s0, s0, .str.2@rel32@lo+4
	s_addc_u32 s1, s1, .str.2@rel32@hi+12
	s_getpc_b64 s[2:3]
	s_add_u32 s2, s2, __PRETTY_FUNCTION__._ZN9rocsolver6v33100L18potf2_kernel_smallIfliPfEEvbT0_T2_lS3_lPT1_@rel32@lo+4
	s_addc_u32 s3, s3, __PRETTY_FUNCTION__._ZN9rocsolver6v33100L18potf2_kernel_smallIfliPfEEvbT0_T2_lS3_lPT1_@rel32@hi+12
	v_dual_mov_b32 v0, s0 :: v_dual_mov_b32 v1, s1
	v_dual_mov_b32 v2, 0x12b :: v_dual_mov_b32 v3, s2
	v_mov_b32_e32 v4, s3
	s_getpc_b64 s[4:5]
	s_add_u32 s4, s4, __assert_fail@rel32@lo+4
	s_addc_u32 s5, s5, __assert_fail@rel32@hi+12
	s_delay_alu instid0(SALU_CYCLE_1)
	s_swappc_b64 s[30:31], s[4:5]
	s_or_b32 s35, s35, exec_lo
.LBB6_125:
	s_delay_alu instid0(SALU_CYCLE_1)
	s_and_saveexec_b32 s0, s35
; %bb.126:
	; divergent unreachable
; %bb.127:
	s_endpgm
	.section	.rodata,"a",@progbits
	.p2align	6, 0x0
	.amdhsa_kernel _ZN9rocsolver6v33100L18potf2_kernel_smallIfliPfEEvbT0_T2_lS3_lPT1_
		.amdhsa_group_segment_fixed_size 0
		.amdhsa_private_segment_fixed_size 64
		.amdhsa_kernarg_size 312
		.amdhsa_user_sgpr_count 14
		.amdhsa_user_sgpr_dispatch_ptr 0
		.amdhsa_user_sgpr_queue_ptr 0
		.amdhsa_user_sgpr_kernarg_segment_ptr 1
		.amdhsa_user_sgpr_dispatch_id 0
		.amdhsa_user_sgpr_private_segment_size 0
		.amdhsa_wavefront_size32 1
		.amdhsa_uses_dynamic_stack 0
		.amdhsa_enable_private_segment 1
		.amdhsa_system_sgpr_workgroup_id_x 1
		.amdhsa_system_sgpr_workgroup_id_y 0
		.amdhsa_system_sgpr_workgroup_id_z 1
		.amdhsa_system_sgpr_workgroup_info 0
		.amdhsa_system_vgpr_workitem_id 2
		.amdhsa_next_free_vgpr 51
		.amdhsa_next_free_sgpr 51
		.amdhsa_reserve_vcc 1
		.amdhsa_float_round_mode_32 0
		.amdhsa_float_round_mode_16_64 0
		.amdhsa_float_denorm_mode_32 3
		.amdhsa_float_denorm_mode_16_64 3
		.amdhsa_dx10_clamp 1
		.amdhsa_ieee_mode 1
		.amdhsa_fp16_overflow 0
		.amdhsa_workgroup_processor_mode 1
		.amdhsa_memory_ordered 1
		.amdhsa_forward_progress 0
		.amdhsa_shared_vgpr_count 0
		.amdhsa_exception_fp_ieee_invalid_op 0
		.amdhsa_exception_fp_denorm_src 0
		.amdhsa_exception_fp_ieee_div_zero 0
		.amdhsa_exception_fp_ieee_overflow 0
		.amdhsa_exception_fp_ieee_underflow 0
		.amdhsa_exception_fp_ieee_inexact 0
		.amdhsa_exception_int_div_zero 0
	.end_amdhsa_kernel
	.section	.text._ZN9rocsolver6v33100L18potf2_kernel_smallIfliPfEEvbT0_T2_lS3_lPT1_,"axG",@progbits,_ZN9rocsolver6v33100L18potf2_kernel_smallIfliPfEEvbT0_T2_lS3_lPT1_,comdat
.Lfunc_end6:
	.size	_ZN9rocsolver6v33100L18potf2_kernel_smallIfliPfEEvbT0_T2_lS3_lPT1_, .Lfunc_end6-_ZN9rocsolver6v33100L18potf2_kernel_smallIfliPfEEvbT0_T2_lS3_lPT1_
                                        ; -- End function
	.section	.AMDGPU.csdata,"",@progbits
; Kernel info:
; codeLenInByte = 5756
; NumSgprs: 53
; NumVgprs: 51
; ScratchSize: 64
; MemoryBound: 0
; FloatMode: 240
; IeeeMode: 1
; LDSByteSize: 0 bytes/workgroup (compile time only)
; SGPRBlocks: 6
; VGPRBlocks: 6
; NumSGPRsForWavesPerEU: 53
; NumVGPRsForWavesPerEU: 51
; Occupancy: 16
; WaveLimiterHint : 1
; COMPUTE_PGM_RSRC2:SCRATCH_EN: 1
; COMPUTE_PGM_RSRC2:USER_SGPR: 14
; COMPUTE_PGM_RSRC2:TRAP_HANDLER: 0
; COMPUTE_PGM_RSRC2:TGID_X_EN: 1
; COMPUTE_PGM_RSRC2:TGID_Y_EN: 0
; COMPUTE_PGM_RSRC2:TGID_Z_EN: 1
; COMPUTE_PGM_RSRC2:TIDIG_COMP_CNT: 2
	.text
	.p2alignl 7, 3214868480
	.fill 96, 4, 3214868480
	.type	__const.__assert_fail.fmt,@object ; @__const.__assert_fail.fmt
	.section	.rodata.str1.16,"aMS",@progbits,1
	.p2align	4, 0x0
__const.__assert_fail.fmt:
	.asciz	"%s:%u: %s: Device-side assertion `%s' failed.\n"
	.size	__const.__assert_fail.fmt, 47

	.type	.str,@object                    ; @.str
	.section	.rodata.str1.1,"aMS",@progbits,1
.str:
	.asciz	"hipBlockDim_z == 1"
	.size	.str, 19

	.type	.str.1,@object                  ; @.str.1
.str.1:
	.asciz	"/root/src/amdgpu-assembly/repos/ROCm__rocSOLVER/library/src/specialized/roclapack_potf2_specialized_kernels.hpp"
	.size	.str.1, 112

	.type	__PRETTY_FUNCTION__._ZN9rocsolver6v33100L18potf2_kernel_smallIfiiPfEEvbT0_T2_lS3_lPT1_,@object ; @__PRETTY_FUNCTION__._ZN9rocsolver6v33100L18potf2_kernel_smallIfiiPfEEvbT0_T2_lS3_lPT1_
__PRETTY_FUNCTION__._ZN9rocsolver6v33100L18potf2_kernel_smallIfiiPfEEvbT0_T2_lS3_lPT1_:
	.asciz	"void rocsolver::potf2_kernel_small(const bool, const I, U, const rocblas_stride, const I, const rocblas_stride, INFO *const) [T = float, I = int, INFO = int, U = float *]"
	.size	__PRETTY_FUNCTION__._ZN9rocsolver6v33100L18potf2_kernel_smallIfiiPfEEvbT0_T2_lS3_lPT1_, 171

	.type	.str.2,@object                  ; @.str.2
.str.2:
	.asciz	"AA != nullptr"
	.size	.str.2, 14

	.type	.str.3,@object                  ; @.str.3
.str.3:
	.asciz	"info != nullptr"
	.size	.str.3, 16

	.type	.str.4,@object                  ; @.str.4
.str.4:
	.asciz	"A != nullptr"
	.size	.str.4, 13

	.type	.str.6,@object                  ; @.str.6
.str.6:
	.asciz	"(0 <= i) && (i <= (n - 1))"
	.size	.str.6, 27

	.type	__PRETTY_FUNCTION__._ZN9rocsolver6v33100L9idx_lowerIiEET_S2_S2_S2_,@object ; @__PRETTY_FUNCTION__._ZN9rocsolver6v33100L9idx_lowerIiEET_S2_S2_S2_
__PRETTY_FUNCTION__._ZN9rocsolver6v33100L9idx_lowerIiEET_S2_S2_S2_:
	.asciz	"I rocsolver::idx_lower(I, I, I) [I = int]"
	.size	__PRETTY_FUNCTION__._ZN9rocsolver6v33100L9idx_lowerIiEET_S2_S2_S2_, 42

	.type	.str.7,@object                  ; @.str.7
.str.7:
	.asciz	"(0 <= j) && (j <= (n - 1))"
	.size	.str.7, 27

	.type	.str.8,@object                  ; @.str.8
.str.8:
	.asciz	"i >= j"
	.size	.str.8, 7

	.type	__PRETTY_FUNCTION__._ZN9rocsolver6v33100L18potf2_kernel_smallIfiiPKPfEEvbT0_T2_lS5_lPT1_,@object ; @__PRETTY_FUNCTION__._ZN9rocsolver6v33100L18potf2_kernel_smallIfiiPKPfEEvbT0_T2_lS5_lPT1_
__PRETTY_FUNCTION__._ZN9rocsolver6v33100L18potf2_kernel_smallIfiiPKPfEEvbT0_T2_lS5_lPT1_:
	.asciz	"void rocsolver::potf2_kernel_small(const bool, const I, U, const rocblas_stride, const I, const rocblas_stride, INFO *const) [T = float, I = int, INFO = int, U = float *const *]"
	.size	__PRETTY_FUNCTION__._ZN9rocsolver6v33100L18potf2_kernel_smallIfiiPKPfEEvbT0_T2_lS5_lPT1_, 178

	.type	__PRETTY_FUNCTION__._ZN9rocsolver6v33100L18potf2_kernel_smallIfllPfEEvbT0_T2_lS3_lPT1_,@object ; @__PRETTY_FUNCTION__._ZN9rocsolver6v33100L18potf2_kernel_smallIfllPfEEvbT0_T2_lS3_lPT1_
__PRETTY_FUNCTION__._ZN9rocsolver6v33100L18potf2_kernel_smallIfllPfEEvbT0_T2_lS3_lPT1_:
	.asciz	"void rocsolver::potf2_kernel_small(const bool, const I, U, const rocblas_stride, const I, const rocblas_stride, INFO *const) [T = float, I = long, INFO = long, U = float *]"
	.size	__PRETTY_FUNCTION__._ZN9rocsolver6v33100L18potf2_kernel_smallIfllPfEEvbT0_T2_lS3_lPT1_, 173

	.type	__PRETTY_FUNCTION__._ZN9rocsolver6v33100L9idx_lowerIlEET_S2_S2_S2_,@object ; @__PRETTY_FUNCTION__._ZN9rocsolver6v33100L9idx_lowerIlEET_S2_S2_S2_
__PRETTY_FUNCTION__._ZN9rocsolver6v33100L9idx_lowerIlEET_S2_S2_S2_:
	.asciz	"I rocsolver::idx_lower(I, I, I) [I = long]"
	.size	__PRETTY_FUNCTION__._ZN9rocsolver6v33100L9idx_lowerIlEET_S2_S2_S2_, 43

	.type	__PRETTY_FUNCTION__._ZN9rocsolver6v33100L18potf2_kernel_smallIfllPKPfEEvbT0_T2_lS5_lPT1_,@object ; @__PRETTY_FUNCTION__._ZN9rocsolver6v33100L18potf2_kernel_smallIfllPKPfEEvbT0_T2_lS5_lPT1_
__PRETTY_FUNCTION__._ZN9rocsolver6v33100L18potf2_kernel_smallIfllPKPfEEvbT0_T2_lS5_lPT1_:
	.asciz	"void rocsolver::potf2_kernel_small(const bool, const I, U, const rocblas_stride, const I, const rocblas_stride, INFO *const) [T = float, I = long, INFO = long, U = float *const *]"
	.size	__PRETTY_FUNCTION__._ZN9rocsolver6v33100L18potf2_kernel_smallIfllPKPfEEvbT0_T2_lS5_lPT1_, 180

	.type	__PRETTY_FUNCTION__._ZN9rocsolver6v33100L18potf2_kernel_smallIfliPfEEvbT0_T2_lS3_lPT1_,@object ; @__PRETTY_FUNCTION__._ZN9rocsolver6v33100L18potf2_kernel_smallIfliPfEEvbT0_T2_lS3_lPT1_
__PRETTY_FUNCTION__._ZN9rocsolver6v33100L18potf2_kernel_smallIfliPfEEvbT0_T2_lS3_lPT1_:
	.asciz	"void rocsolver::potf2_kernel_small(const bool, const I, U, const rocblas_stride, const I, const rocblas_stride, INFO *const) [T = float, I = long, INFO = int, U = float *]"
	.size	__PRETTY_FUNCTION__._ZN9rocsolver6v33100L18potf2_kernel_smallIfliPfEEvbT0_T2_lS3_lPT1_, 172

	.type	__hip_cuid_96a7b97946a4d836,@object ; @__hip_cuid_96a7b97946a4d836
	.section	.bss,"aw",@nobits
	.globl	__hip_cuid_96a7b97946a4d836
__hip_cuid_96a7b97946a4d836:
	.byte	0                               ; 0x0
	.size	__hip_cuid_96a7b97946a4d836, 1

	.ident	"AMD clang version 19.0.0git (https://github.com/RadeonOpenCompute/llvm-project roc-6.4.0 25133 c7fe45cf4b819c5991fe208aaa96edf142730f1d)"
	.section	".note.GNU-stack","",@progbits
	.addrsig
	.addrsig_sym __hip_cuid_96a7b97946a4d836
	.amdgpu_metadata
---
amdhsa.kernels:
  - .args:
      - .offset:         0
        .size:           1
        .value_kind:     by_value
      - .offset:         4
        .size:           4
        .value_kind:     by_value
      - .address_space:  global
        .offset:         8
        .size:           8
        .value_kind:     global_buffer
      - .offset:         16
        .size:           8
        .value_kind:     by_value
      - .offset:         24
        .size:           4
        .value_kind:     by_value
      - .offset:         32
        .size:           8
        .value_kind:     by_value
      - .address_space:  global
        .offset:         40
        .size:           8
        .value_kind:     global_buffer
      - .offset:         48
        .size:           4
        .value_kind:     hidden_block_count_x
      - .offset:         52
        .size:           4
        .value_kind:     hidden_block_count_y
      - .offset:         56
        .size:           4
        .value_kind:     hidden_block_count_z
      - .offset:         60
        .size:           2
        .value_kind:     hidden_group_size_x
      - .offset:         62
        .size:           2
        .value_kind:     hidden_group_size_y
      - .offset:         64
        .size:           2
        .value_kind:     hidden_group_size_z
      - .offset:         66
        .size:           2
        .value_kind:     hidden_remainder_x
      - .offset:         68
        .size:           2
        .value_kind:     hidden_remainder_y
      - .offset:         70
        .size:           2
        .value_kind:     hidden_remainder_z
      - .offset:         88
        .size:           8
        .value_kind:     hidden_global_offset_x
      - .offset:         96
        .size:           8
        .value_kind:     hidden_global_offset_y
      - .offset:         104
        .size:           8
        .value_kind:     hidden_global_offset_z
      - .offset:         112
        .size:           2
        .value_kind:     hidden_grid_dims
      - .offset:         128
        .size:           8
        .value_kind:     hidden_hostcall_buffer
      - .offset:         168
        .size:           4
        .value_kind:     hidden_dynamic_lds_size
    .group_segment_fixed_size: 0
    .kernarg_segment_align: 8
    .kernarg_segment_size: 304
    .language:       OpenCL C
    .language_version:
      - 2
      - 0
    .max_flat_workgroup_size: 1024
    .name:           _ZN9rocsolver6v33100L18potf2_kernel_smallIfiiPfEEvbT0_T2_lS3_lPT1_
    .private_segment_fixed_size: 64
    .sgpr_count:     50
    .sgpr_spill_count: 0
    .symbol:         _ZN9rocsolver6v33100L18potf2_kernel_smallIfiiPfEEvbT0_T2_lS3_lPT1_.kd
    .uniform_work_group_size: 1
    .uses_dynamic_stack: false
    .vgpr_count:     51
    .vgpr_spill_count: 0
    .wavefront_size: 32
    .workgroup_processor_mode: 1
  - .args:
      - .offset:         0
        .size:           1
        .value_kind:     by_value
      - .offset:         4
        .size:           4
        .value_kind:     by_value
      - .address_space:  global
        .offset:         8
        .size:           8
        .value_kind:     global_buffer
      - .offset:         16
        .size:           8
        .value_kind:     by_value
      - .offset:         24
        .size:           4
        .value_kind:     by_value
      - .offset:         32
        .size:           8
        .value_kind:     by_value
      - .address_space:  global
        .offset:         40
        .size:           8
        .value_kind:     global_buffer
      - .offset:         48
        .size:           4
        .value_kind:     hidden_block_count_x
      - .offset:         52
        .size:           4
        .value_kind:     hidden_block_count_y
      - .offset:         56
        .size:           4
        .value_kind:     hidden_block_count_z
      - .offset:         60
        .size:           2
        .value_kind:     hidden_group_size_x
      - .offset:         62
        .size:           2
        .value_kind:     hidden_group_size_y
      - .offset:         64
        .size:           2
        .value_kind:     hidden_group_size_z
      - .offset:         66
        .size:           2
        .value_kind:     hidden_remainder_x
      - .offset:         68
        .size:           2
        .value_kind:     hidden_remainder_y
      - .offset:         70
        .size:           2
        .value_kind:     hidden_remainder_z
      - .offset:         88
        .size:           8
        .value_kind:     hidden_global_offset_x
      - .offset:         96
        .size:           8
        .value_kind:     hidden_global_offset_y
      - .offset:         104
        .size:           8
        .value_kind:     hidden_global_offset_z
      - .offset:         112
        .size:           2
        .value_kind:     hidden_grid_dims
      - .offset:         128
        .size:           8
        .value_kind:     hidden_hostcall_buffer
      - .offset:         168
        .size:           4
        .value_kind:     hidden_dynamic_lds_size
    .group_segment_fixed_size: 0
    .kernarg_segment_align: 8
    .kernarg_segment_size: 304
    .language:       OpenCL C
    .language_version:
      - 2
      - 0
    .max_flat_workgroup_size: 1024
    .name:           _ZN9rocsolver6v33100L18potf2_kernel_smallIfiiPKPfEEvbT0_T2_lS5_lPT1_
    .private_segment_fixed_size: 64
    .sgpr_count:     48
    .sgpr_spill_count: 0
    .symbol:         _ZN9rocsolver6v33100L18potf2_kernel_smallIfiiPKPfEEvbT0_T2_lS5_lPT1_.kd
    .uniform_work_group_size: 1
    .uses_dynamic_stack: false
    .vgpr_count:     51
    .vgpr_spill_count: 0
    .wavefront_size: 32
    .workgroup_processor_mode: 1
  - .args:
      - .offset:         0
        .size:           1
        .value_kind:     by_value
      - .offset:         8
        .size:           8
        .value_kind:     by_value
      - .address_space:  global
        .offset:         16
        .size:           8
        .value_kind:     global_buffer
      - .offset:         24
        .size:           8
        .value_kind:     by_value
      - .offset:         32
        .size:           8
        .value_kind:     by_value
      - .offset:         40
        .size:           8
        .value_kind:     by_value
      - .address_space:  global
        .offset:         48
        .size:           8
        .value_kind:     global_buffer
      - .offset:         56
        .size:           4
        .value_kind:     hidden_block_count_x
      - .offset:         60
        .size:           4
        .value_kind:     hidden_block_count_y
      - .offset:         64
        .size:           4
        .value_kind:     hidden_block_count_z
      - .offset:         68
        .size:           2
        .value_kind:     hidden_group_size_x
      - .offset:         70
        .size:           2
        .value_kind:     hidden_group_size_y
      - .offset:         72
        .size:           2
        .value_kind:     hidden_group_size_z
      - .offset:         74
        .size:           2
        .value_kind:     hidden_remainder_x
      - .offset:         76
        .size:           2
        .value_kind:     hidden_remainder_y
      - .offset:         78
        .size:           2
        .value_kind:     hidden_remainder_z
      - .offset:         96
        .size:           8
        .value_kind:     hidden_global_offset_x
      - .offset:         104
        .size:           8
        .value_kind:     hidden_global_offset_y
      - .offset:         112
        .size:           8
        .value_kind:     hidden_global_offset_z
      - .offset:         120
        .size:           2
        .value_kind:     hidden_grid_dims
      - .offset:         136
        .size:           8
        .value_kind:     hidden_hostcall_buffer
      - .offset:         176
        .size:           4
        .value_kind:     hidden_dynamic_lds_size
    .group_segment_fixed_size: 0
    .kernarg_segment_align: 8
    .kernarg_segment_size: 312
    .language:       OpenCL C
    .language_version:
      - 2
      - 0
    .max_flat_workgroup_size: 1024
    .name:           _ZN9rocsolver6v33100L18potf2_kernel_smallIfllPfEEvbT0_T2_lS3_lPT1_
    .private_segment_fixed_size: 64
    .sgpr_count:     53
    .sgpr_spill_count: 0
    .symbol:         _ZN9rocsolver6v33100L18potf2_kernel_smallIfllPfEEvbT0_T2_lS3_lPT1_.kd
    .uniform_work_group_size: 1
    .uses_dynamic_stack: false
    .vgpr_count:     51
    .vgpr_spill_count: 0
    .wavefront_size: 32
    .workgroup_processor_mode: 1
  - .args:
      - .offset:         0
        .size:           1
        .value_kind:     by_value
      - .offset:         8
        .size:           8
        .value_kind:     by_value
      - .address_space:  global
        .offset:         16
        .size:           8
        .value_kind:     global_buffer
      - .offset:         24
        .size:           8
        .value_kind:     by_value
      - .offset:         32
        .size:           8
        .value_kind:     by_value
      - .offset:         40
        .size:           8
        .value_kind:     by_value
      - .address_space:  global
        .offset:         48
        .size:           8
        .value_kind:     global_buffer
      - .offset:         56
        .size:           4
        .value_kind:     hidden_block_count_x
      - .offset:         60
        .size:           4
        .value_kind:     hidden_block_count_y
      - .offset:         64
        .size:           4
        .value_kind:     hidden_block_count_z
      - .offset:         68
        .size:           2
        .value_kind:     hidden_group_size_x
      - .offset:         70
        .size:           2
        .value_kind:     hidden_group_size_y
      - .offset:         72
        .size:           2
        .value_kind:     hidden_group_size_z
      - .offset:         74
        .size:           2
        .value_kind:     hidden_remainder_x
      - .offset:         76
        .size:           2
        .value_kind:     hidden_remainder_y
      - .offset:         78
        .size:           2
        .value_kind:     hidden_remainder_z
      - .offset:         96
        .size:           8
        .value_kind:     hidden_global_offset_x
      - .offset:         104
        .size:           8
        .value_kind:     hidden_global_offset_y
      - .offset:         112
        .size:           8
        .value_kind:     hidden_global_offset_z
      - .offset:         120
        .size:           2
        .value_kind:     hidden_grid_dims
      - .offset:         136
        .size:           8
        .value_kind:     hidden_hostcall_buffer
      - .offset:         176
        .size:           4
        .value_kind:     hidden_dynamic_lds_size
    .group_segment_fixed_size: 0
    .kernarg_segment_align: 8
    .kernarg_segment_size: 312
    .language:       OpenCL C
    .language_version:
      - 2
      - 0
    .max_flat_workgroup_size: 1024
    .name:           _ZN9rocsolver6v33100L18potf2_kernel_smallIfllPKPfEEvbT0_T2_lS5_lPT1_
    .private_segment_fixed_size: 64
    .sgpr_count:     48
    .sgpr_spill_count: 0
    .symbol:         _ZN9rocsolver6v33100L18potf2_kernel_smallIfllPKPfEEvbT0_T2_lS5_lPT1_.kd
    .uniform_work_group_size: 1
    .uses_dynamic_stack: false
    .vgpr_count:     51
    .vgpr_spill_count: 0
    .wavefront_size: 32
    .workgroup_processor_mode: 1
  - .args:
      - .offset:         0
        .size:           1
        .value_kind:     by_value
      - .offset:         8
        .size:           8
        .value_kind:     by_value
      - .address_space:  global
        .offset:         16
        .size:           8
        .value_kind:     global_buffer
      - .offset:         24
        .size:           8
        .value_kind:     by_value
      - .offset:         32
        .size:           8
        .value_kind:     by_value
      - .offset:         40
        .size:           8
        .value_kind:     by_value
      - .address_space:  global
        .offset:         48
        .size:           8
        .value_kind:     global_buffer
      - .offset:         56
        .size:           4
        .value_kind:     hidden_block_count_x
      - .offset:         60
        .size:           4
        .value_kind:     hidden_block_count_y
      - .offset:         64
        .size:           4
        .value_kind:     hidden_block_count_z
      - .offset:         68
        .size:           2
        .value_kind:     hidden_group_size_x
      - .offset:         70
        .size:           2
        .value_kind:     hidden_group_size_y
      - .offset:         72
        .size:           2
        .value_kind:     hidden_group_size_z
      - .offset:         74
        .size:           2
        .value_kind:     hidden_remainder_x
      - .offset:         76
        .size:           2
        .value_kind:     hidden_remainder_y
      - .offset:         78
        .size:           2
        .value_kind:     hidden_remainder_z
      - .offset:         96
        .size:           8
        .value_kind:     hidden_global_offset_x
      - .offset:         104
        .size:           8
        .value_kind:     hidden_global_offset_y
      - .offset:         112
        .size:           8
        .value_kind:     hidden_global_offset_z
      - .offset:         120
        .size:           2
        .value_kind:     hidden_grid_dims
      - .offset:         136
        .size:           8
        .value_kind:     hidden_hostcall_buffer
      - .offset:         176
        .size:           4
        .value_kind:     hidden_dynamic_lds_size
    .group_segment_fixed_size: 0
    .kernarg_segment_align: 8
    .kernarg_segment_size: 312
    .language:       OpenCL C
    .language_version:
      - 2
      - 0
    .max_flat_workgroup_size: 1024
    .name:           _ZN9rocsolver6v33100L18potf2_kernel_smallIfliPfEEvbT0_T2_lS3_lPT1_
    .private_segment_fixed_size: 64
    .sgpr_count:     53
    .sgpr_spill_count: 0
    .symbol:         _ZN9rocsolver6v33100L18potf2_kernel_smallIfliPfEEvbT0_T2_lS3_lPT1_.kd
    .uniform_work_group_size: 1
    .uses_dynamic_stack: false
    .vgpr_count:     51
    .vgpr_spill_count: 0
    .wavefront_size: 32
    .workgroup_processor_mode: 1
amdhsa.target:   amdgcn-amd-amdhsa--gfx1100
amdhsa.version:
  - 1
  - 2
...

	.end_amdgpu_metadata
